;; amdgpu-corpus repo=ROCm/rocFFT kind=compiled arch=gfx906 opt=O3
	.text
	.amdgcn_target "amdgcn-amd-amdhsa--gfx906"
	.amdhsa_code_object_version 6
	.protected	fft_rtc_fwd_len1176_factors_2_2_2_3_7_7_wgs_56_tpt_56_halfLds_dp_ip_CI_unitstride_sbrr_C2R_dirReg ; -- Begin function fft_rtc_fwd_len1176_factors_2_2_2_3_7_7_wgs_56_tpt_56_halfLds_dp_ip_CI_unitstride_sbrr_C2R_dirReg
	.globl	fft_rtc_fwd_len1176_factors_2_2_2_3_7_7_wgs_56_tpt_56_halfLds_dp_ip_CI_unitstride_sbrr_C2R_dirReg
	.p2align	8
	.type	fft_rtc_fwd_len1176_factors_2_2_2_3_7_7_wgs_56_tpt_56_halfLds_dp_ip_CI_unitstride_sbrr_C2R_dirReg,@function
fft_rtc_fwd_len1176_factors_2_2_2_3_7_7_wgs_56_tpt_56_halfLds_dp_ip_CI_unitstride_sbrr_C2R_dirReg: ; @fft_rtc_fwd_len1176_factors_2_2_2_3_7_7_wgs_56_tpt_56_halfLds_dp_ip_CI_unitstride_sbrr_C2R_dirReg
; %bb.0:
	s_load_dwordx2 s[12:13], s[4:5], 0x50
	s_load_dwordx4 s[8:11], s[4:5], 0x0
	s_load_dwordx2 s[2:3], s[4:5], 0x18
	v_mul_u32_u24_e32 v1, 0x493, v0
	v_add_u32_sdwa v5, s6, v1 dst_sel:DWORD dst_unused:UNUSED_PAD src0_sel:DWORD src1_sel:WORD_1
	v_mov_b32_e32 v3, 0
	s_waitcnt lgkmcnt(0)
	v_cmp_lt_u64_e64 s[0:1], s[10:11], 2
	v_mov_b32_e32 v1, 0
	v_mov_b32_e32 v6, v3
	s_and_b64 vcc, exec, s[0:1]
	v_mov_b32_e32 v2, 0
	s_cbranch_vccnz .LBB0_8
; %bb.1:
	s_load_dwordx2 s[0:1], s[4:5], 0x10
	s_add_u32 s6, s2, 8
	s_addc_u32 s7, s3, 0
	v_mov_b32_e32 v1, 0
	v_mov_b32_e32 v2, 0
	s_waitcnt lgkmcnt(0)
	s_add_u32 s14, s0, 8
	s_addc_u32 s15, s1, 0
	s_mov_b64 s[16:17], 1
.LBB0_2:                                ; =>This Inner Loop Header: Depth=1
	s_load_dwordx2 s[18:19], s[14:15], 0x0
                                        ; implicit-def: $vgpr7_vgpr8
	s_waitcnt lgkmcnt(0)
	v_or_b32_e32 v4, s19, v6
	v_cmp_ne_u64_e32 vcc, 0, v[3:4]
	s_and_saveexec_b64 s[0:1], vcc
	s_xor_b64 s[20:21], exec, s[0:1]
	s_cbranch_execz .LBB0_4
; %bb.3:                                ;   in Loop: Header=BB0_2 Depth=1
	v_cvt_f32_u32_e32 v4, s18
	v_cvt_f32_u32_e32 v7, s19
	s_sub_u32 s0, 0, s18
	s_subb_u32 s1, 0, s19
	v_mac_f32_e32 v4, 0x4f800000, v7
	v_rcp_f32_e32 v4, v4
	v_mul_f32_e32 v4, 0x5f7ffffc, v4
	v_mul_f32_e32 v7, 0x2f800000, v4
	v_trunc_f32_e32 v7, v7
	v_mac_f32_e32 v4, 0xcf800000, v7
	v_cvt_u32_f32_e32 v7, v7
	v_cvt_u32_f32_e32 v4, v4
	v_mul_lo_u32 v8, s0, v7
	v_mul_hi_u32 v9, s0, v4
	v_mul_lo_u32 v11, s1, v4
	v_mul_lo_u32 v10, s0, v4
	v_add_u32_e32 v8, v9, v8
	v_add_u32_e32 v8, v8, v11
	v_mul_hi_u32 v9, v4, v10
	v_mul_lo_u32 v11, v4, v8
	v_mul_hi_u32 v13, v4, v8
	v_mul_hi_u32 v12, v7, v10
	v_mul_lo_u32 v10, v7, v10
	v_mul_hi_u32 v14, v7, v8
	v_add_co_u32_e32 v9, vcc, v9, v11
	v_addc_co_u32_e32 v11, vcc, 0, v13, vcc
	v_mul_lo_u32 v8, v7, v8
	v_add_co_u32_e32 v9, vcc, v9, v10
	v_addc_co_u32_e32 v9, vcc, v11, v12, vcc
	v_addc_co_u32_e32 v10, vcc, 0, v14, vcc
	v_add_co_u32_e32 v8, vcc, v9, v8
	v_addc_co_u32_e32 v9, vcc, 0, v10, vcc
	v_add_co_u32_e32 v4, vcc, v4, v8
	v_addc_co_u32_e32 v7, vcc, v7, v9, vcc
	v_mul_lo_u32 v8, s0, v7
	v_mul_hi_u32 v9, s0, v4
	v_mul_lo_u32 v10, s1, v4
	v_mul_lo_u32 v11, s0, v4
	v_add_u32_e32 v8, v9, v8
	v_add_u32_e32 v8, v8, v10
	v_mul_lo_u32 v12, v4, v8
	v_mul_hi_u32 v13, v4, v11
	v_mul_hi_u32 v14, v4, v8
	;; [unrolled: 1-line block ×3, first 2 shown]
	v_mul_lo_u32 v11, v7, v11
	v_mul_hi_u32 v9, v7, v8
	v_add_co_u32_e32 v12, vcc, v13, v12
	v_addc_co_u32_e32 v13, vcc, 0, v14, vcc
	v_mul_lo_u32 v8, v7, v8
	v_add_co_u32_e32 v11, vcc, v12, v11
	v_addc_co_u32_e32 v10, vcc, v13, v10, vcc
	v_addc_co_u32_e32 v9, vcc, 0, v9, vcc
	v_add_co_u32_e32 v8, vcc, v10, v8
	v_addc_co_u32_e32 v9, vcc, 0, v9, vcc
	v_add_co_u32_e32 v4, vcc, v4, v8
	v_addc_co_u32_e32 v9, vcc, v7, v9, vcc
	v_mad_u64_u32 v[7:8], s[0:1], v5, v9, 0
	v_mul_hi_u32 v10, v5, v4
	v_add_co_u32_e32 v11, vcc, v10, v7
	v_addc_co_u32_e32 v12, vcc, 0, v8, vcc
	v_mad_u64_u32 v[7:8], s[0:1], v6, v4, 0
	v_mad_u64_u32 v[9:10], s[0:1], v6, v9, 0
	v_add_co_u32_e32 v4, vcc, v11, v7
	v_addc_co_u32_e32 v4, vcc, v12, v8, vcc
	v_addc_co_u32_e32 v7, vcc, 0, v10, vcc
	v_add_co_u32_e32 v4, vcc, v4, v9
	v_addc_co_u32_e32 v9, vcc, 0, v7, vcc
	v_mul_lo_u32 v10, s19, v4
	v_mul_lo_u32 v11, s18, v9
	v_mad_u64_u32 v[7:8], s[0:1], s18, v4, 0
	v_add3_u32 v8, v8, v11, v10
	v_sub_u32_e32 v10, v6, v8
	v_mov_b32_e32 v11, s19
	v_sub_co_u32_e32 v7, vcc, v5, v7
	v_subb_co_u32_e64 v10, s[0:1], v10, v11, vcc
	v_subrev_co_u32_e64 v11, s[0:1], s18, v7
	v_subbrev_co_u32_e64 v10, s[0:1], 0, v10, s[0:1]
	v_cmp_le_u32_e64 s[0:1], s19, v10
	v_cndmask_b32_e64 v12, 0, -1, s[0:1]
	v_cmp_le_u32_e64 s[0:1], s18, v11
	v_cndmask_b32_e64 v11, 0, -1, s[0:1]
	v_cmp_eq_u32_e64 s[0:1], s19, v10
	v_cndmask_b32_e64 v10, v12, v11, s[0:1]
	v_add_co_u32_e64 v11, s[0:1], 2, v4
	v_addc_co_u32_e64 v12, s[0:1], 0, v9, s[0:1]
	v_add_co_u32_e64 v13, s[0:1], 1, v4
	v_addc_co_u32_e64 v14, s[0:1], 0, v9, s[0:1]
	v_subb_co_u32_e32 v8, vcc, v6, v8, vcc
	v_cmp_ne_u32_e64 s[0:1], 0, v10
	v_cmp_le_u32_e32 vcc, s19, v8
	v_cndmask_b32_e64 v10, v14, v12, s[0:1]
	v_cndmask_b32_e64 v12, 0, -1, vcc
	v_cmp_le_u32_e32 vcc, s18, v7
	v_cndmask_b32_e64 v7, 0, -1, vcc
	v_cmp_eq_u32_e32 vcc, s19, v8
	v_cndmask_b32_e32 v7, v12, v7, vcc
	v_cmp_ne_u32_e32 vcc, 0, v7
	v_cndmask_b32_e64 v7, v13, v11, s[0:1]
	v_cndmask_b32_e32 v8, v9, v10, vcc
	v_cndmask_b32_e32 v7, v4, v7, vcc
.LBB0_4:                                ;   in Loop: Header=BB0_2 Depth=1
	s_andn2_saveexec_b64 s[0:1], s[20:21]
	s_cbranch_execz .LBB0_6
; %bb.5:                                ;   in Loop: Header=BB0_2 Depth=1
	v_cvt_f32_u32_e32 v4, s18
	s_sub_i32 s20, 0, s18
	v_rcp_iflag_f32_e32 v4, v4
	v_mul_f32_e32 v4, 0x4f7ffffe, v4
	v_cvt_u32_f32_e32 v4, v4
	v_mul_lo_u32 v7, s20, v4
	v_mul_hi_u32 v7, v4, v7
	v_add_u32_e32 v4, v4, v7
	v_mul_hi_u32 v4, v5, v4
	v_mul_lo_u32 v7, v4, s18
	v_add_u32_e32 v8, 1, v4
	v_sub_u32_e32 v7, v5, v7
	v_subrev_u32_e32 v9, s18, v7
	v_cmp_le_u32_e32 vcc, s18, v7
	v_cndmask_b32_e32 v7, v7, v9, vcc
	v_cndmask_b32_e32 v4, v4, v8, vcc
	v_add_u32_e32 v8, 1, v4
	v_cmp_le_u32_e32 vcc, s18, v7
	v_cndmask_b32_e32 v7, v4, v8, vcc
	v_mov_b32_e32 v8, v3
.LBB0_6:                                ;   in Loop: Header=BB0_2 Depth=1
	s_or_b64 exec, exec, s[0:1]
	v_mul_lo_u32 v4, v8, s18
	v_mul_lo_u32 v11, v7, s19
	v_mad_u64_u32 v[9:10], s[0:1], v7, s18, 0
	s_load_dwordx2 s[0:1], s[6:7], 0x0
	s_add_u32 s16, s16, 1
	v_add3_u32 v4, v10, v11, v4
	v_sub_co_u32_e32 v5, vcc, v5, v9
	v_subb_co_u32_e32 v4, vcc, v6, v4, vcc
	s_waitcnt lgkmcnt(0)
	v_mul_lo_u32 v4, s0, v4
	v_mul_lo_u32 v6, s1, v5
	v_mad_u64_u32 v[1:2], s[0:1], s0, v5, v[1:2]
	s_addc_u32 s17, s17, 0
	s_add_u32 s6, s6, 8
	v_add3_u32 v2, v6, v2, v4
	v_mov_b32_e32 v4, s10
	v_mov_b32_e32 v5, s11
	s_addc_u32 s7, s7, 0
	v_cmp_ge_u64_e32 vcc, s[16:17], v[4:5]
	s_add_u32 s14, s14, 8
	s_addc_u32 s15, s15, 0
	s_cbranch_vccnz .LBB0_9
; %bb.7:                                ;   in Loop: Header=BB0_2 Depth=1
	v_mov_b32_e32 v5, v7
	v_mov_b32_e32 v6, v8
	s_branch .LBB0_2
.LBB0_8:
	v_mov_b32_e32 v8, v6
	v_mov_b32_e32 v7, v5
.LBB0_9:
	s_lshl_b64 s[0:1], s[10:11], 3
	s_add_u32 s0, s2, s0
	s_addc_u32 s1, s3, s1
	s_load_dwordx2 s[2:3], s[0:1], 0x0
	s_load_dwordx2 s[6:7], s[4:5], 0x20
	s_waitcnt lgkmcnt(0)
	v_mad_u64_u32 v[1:2], s[0:1], s2, v7, v[1:2]
	v_mul_lo_u32 v3, s2, v8
	v_mul_lo_u32 v4, s3, v7
	s_mov_b32 s0, 0x4924925
	v_mul_hi_u32 v5, v0, s0
	v_cmp_gt_u64_e64 s[0:1], s[6:7], v[7:8]
	v_add3_u32 v2, v4, v2, v3
	v_lshlrev_b64 v[94:95], 4, v[1:2]
	v_mul_u32_u24_e32 v3, 56, v5
	v_sub_u32_e32 v92, v0, v3
	s_and_saveexec_b64 s[2:3], s[0:1]
	s_cbranch_execz .LBB0_13
; %bb.10:
	v_mov_b32_e32 v93, 0
	v_mov_b32_e32 v0, s13
	v_add_co_u32_e32 v1, vcc, s12, v94
	v_lshlrev_b64 v[2:3], 4, v[92:93]
	v_addc_co_u32_e32 v0, vcc, v0, v95, vcc
	v_add_co_u32_e32 v66, vcc, v1, v2
	v_addc_co_u32_e32 v67, vcc, v0, v3, vcc
	s_movk_i32 s4, 0x1000
	v_or_b32_e32 v34, 0x1c0, v92
	v_mov_b32_e32 v35, v93
	v_add_co_u32_e32 v42, vcc, s4, v66
	v_lshlrev_b64 v[34:35], 4, v[34:35]
	v_addc_co_u32_e32 v43, vcc, 0, v67, vcc
	v_add_co_u32_e32 v44, vcc, v1, v34
	v_addc_co_u32_e32 v45, vcc, v0, v35, vcc
	s_movk_i32 s4, 0x2000
	v_add_co_u32_e32 v68, vcc, s4, v66
	v_addc_co_u32_e32 v69, vcc, 0, v67, vcc
	s_movk_i32 s4, 0x3000
	v_add_co_u32_e32 v86, vcc, s4, v66
	global_load_dwordx4 v[2:5], v[66:67], off
	global_load_dwordx4 v[6:9], v[66:67], off offset:896
	global_load_dwordx4 v[10:13], v[66:67], off offset:1792
	;; [unrolled: 1-line block ×7, first 2 shown]
	global_load_dwordx4 v[34:37], v[44:45], off
	global_load_dwordx4 v[38:41], v[42:43], off offset:3968
	s_nop 0
	global_load_dwordx4 v[42:45], v[68:69], off offset:768
	global_load_dwordx4 v[46:49], v[68:69], off offset:1664
	v_addc_co_u32_e32 v87, vcc, 0, v67, vcc
	global_load_dwordx4 v[50:53], v[68:69], off offset:2560
	global_load_dwordx4 v[54:57], v[68:69], off offset:3456
	;; [unrolled: 1-line block ×4, first 2 shown]
	v_or_b32_e32 v68, 0x380, v92
	v_mov_b32_e32 v69, v93
	v_lshlrev_b64 v[68:69], 4, v[68:69]
	v_add_co_u32_e32 v88, vcc, v1, v68
	v_addc_co_u32_e32 v89, vcc, v0, v69, vcc
	v_add_co_u32_e32 v90, vcc, 0x4000, v66
	v_addc_co_u32_e32 v91, vcc, 0, v67, vcc
	global_load_dwordx4 v[66:69], v[88:89], off
	global_load_dwordx4 v[70:73], v[86:87], off offset:2944
	global_load_dwordx4 v[74:77], v[86:87], off offset:3840
	;; [unrolled: 1-line block ×4, first 2 shown]
	v_lshl_add_u32 v86, v92, 4, 0
	v_cmp_eq_u32_e32 vcc, 55, v92
	s_waitcnt vmcnt(20)
	ds_write_b128 v86, v[2:5]
	s_waitcnt vmcnt(19)
	ds_write_b128 v86, v[6:9] offset:896
	s_waitcnt vmcnt(18)
	ds_write_b128 v86, v[10:13] offset:1792
	;; [unrolled: 2-line block ×20, first 2 shown]
	s_and_saveexec_b64 s[4:5], vcc
	s_cbranch_execz .LBB0_12
; %bb.11:
	v_add_co_u32_e32 v1, vcc, 0x4000, v1
	v_addc_co_u32_e32 v2, vcc, 0, v0, vcc
	global_load_dwordx4 v[0:3], v[1:2], off offset:2432
	v_mov_b32_e32 v92, 55
	s_waitcnt vmcnt(0)
	ds_write_b128 v93, v[0:3] offset:18816
.LBB0_12:
	s_or_b64 exec, exec, s[4:5]
.LBB0_13:
	s_or_b64 exec, exec, s[2:3]
	v_lshlrev_b32_e32 v0, 4, v92
	v_add_u32_e32 v96, 0, v0
	s_waitcnt lgkmcnt(0)
	; wave barrier
	s_waitcnt lgkmcnt(0)
	v_sub_u32_e32 v10, 0, v0
	ds_read_b64 v[6:7], v96
	ds_read_b64 v[8:9], v10 offset:18816
	s_add_u32 s4, s8, 0x4960
	s_addc_u32 s5, s9, 0
	v_cmp_ne_u32_e32 vcc, 0, v92
                                        ; implicit-def: $vgpr4_vgpr5
	s_waitcnt lgkmcnt(0)
	v_add_f64 v[0:1], v[6:7], v[8:9]
	v_add_f64 v[2:3], v[6:7], -v[8:9]
	s_and_saveexec_b64 s[2:3], vcc
	s_xor_b64 s[2:3], exec, s[2:3]
	s_cbranch_execz .LBB0_15
; %bb.14:
	v_mov_b32_e32 v93, 0
	v_lshlrev_b64 v[0:1], 4, v[92:93]
	v_mov_b32_e32 v2, s5
	v_add_co_u32_e32 v0, vcc, s4, v0
	v_addc_co_u32_e32 v1, vcc, v2, v1, vcc
	global_load_dwordx4 v[2:5], v[0:1], off
	ds_read_b64 v[0:1], v10 offset:18824
	ds_read_b64 v[11:12], v96 offset:8
	v_add_f64 v[13:14], v[6:7], v[8:9]
	v_add_f64 v[8:9], v[6:7], -v[8:9]
	s_waitcnt lgkmcnt(0)
	v_add_f64 v[15:16], v[0:1], v[11:12]
	v_add_f64 v[0:1], v[11:12], -v[0:1]
	s_waitcnt vmcnt(0)
	v_fma_f64 v[6:7], -v[8:9], v[4:5], v[13:14]
	v_fma_f64 v[11:12], v[15:16], v[4:5], -v[0:1]
	v_fma_f64 v[13:14], v[8:9], v[4:5], v[13:14]
	v_fma_f64 v[17:18], v[15:16], v[4:5], v[0:1]
	;; [unrolled: 1-line block ×4, first 2 shown]
	v_fma_f64 v[0:1], -v[15:16], v[2:3], v[13:14]
	v_fma_f64 v[2:3], v[8:9], v[2:3], v[17:18]
	ds_write_b128 v10, v[4:7] offset:18816
	v_mov_b32_e32 v4, v92
	v_mov_b32_e32 v5, v93
.LBB0_15:
	s_andn2_saveexec_b64 s[2:3], s[2:3]
	s_cbranch_execz .LBB0_17
; %bb.16:
	v_mov_b32_e32 v8, 0
	ds_read_b128 v[4:7], v8 offset:9408
	s_waitcnt lgkmcnt(0)
	v_add_f64 v[11:12], v[4:5], v[4:5]
	v_mul_f64 v[13:14], v[6:7], -2.0
	v_mov_b32_e32 v4, 0
	v_mov_b32_e32 v5, 0
	ds_write_b128 v8, v[11:14] offset:9408
.LBB0_17:
	s_or_b64 exec, exec, s[2:3]
	v_lshlrev_b64 v[4:5], 4, v[4:5]
	v_mov_b32_e32 v6, s5
	v_add_co_u32_e32 v4, vcc, s4, v4
	v_addc_co_u32_e32 v5, vcc, v6, v5, vcc
	global_load_dwordx4 v[6:9], v[4:5], off offset:896
	global_load_dwordx4 v[11:14], v[4:5], off offset:1792
	ds_write_b128 v96, v[0:3]
	ds_read_b128 v[0:3], v96 offset:896
	ds_read_b128 v[15:18], v10 offset:17920
	global_load_dwordx4 v[19:22], v[4:5], off offset:2688
	s_movk_i32 s2, 0x1000
	v_or_b32_e32 v88, 0x1c0, v92
	v_mov_b32_e32 v89, 0
	s_waitcnt lgkmcnt(0)
	v_add_f64 v[23:24], v[0:1], v[15:16]
	v_add_f64 v[25:26], v[17:18], v[2:3]
	v_add_f64 v[27:28], v[0:1], -v[15:16]
	v_add_f64 v[0:1], v[2:3], -v[17:18]
	s_waitcnt vmcnt(2)
	v_fma_f64 v[2:3], v[27:28], v[8:9], v[23:24]
	v_fma_f64 v[15:16], v[25:26], v[8:9], v[0:1]
	v_fma_f64 v[17:18], -v[27:28], v[8:9], v[23:24]
	v_fma_f64 v[8:9], v[25:26], v[8:9], -v[0:1]
	v_fma_f64 v[0:1], -v[25:26], v[6:7], v[2:3]
	v_fma_f64 v[2:3], v[27:28], v[6:7], v[15:16]
	v_fma_f64 v[15:16], v[25:26], v[6:7], v[17:18]
	;; [unrolled: 1-line block ×3, first 2 shown]
	ds_write_b128 v96, v[0:3] offset:896
	ds_write_b128 v10, v[15:18] offset:17920
	ds_read_b128 v[0:3], v96 offset:1792
	ds_read_b128 v[6:9], v10 offset:17024
	global_load_dwordx4 v[15:18], v[4:5], off offset:3584
	s_waitcnt lgkmcnt(0)
	v_add_f64 v[23:24], v[0:1], v[6:7]
	v_add_f64 v[25:26], v[8:9], v[2:3]
	v_add_f64 v[27:28], v[0:1], -v[6:7]
	v_add_f64 v[0:1], v[2:3], -v[8:9]
	s_waitcnt vmcnt(2)
	v_fma_f64 v[2:3], v[27:28], v[13:14], v[23:24]
	v_fma_f64 v[6:7], v[25:26], v[13:14], v[0:1]
	v_fma_f64 v[8:9], -v[27:28], v[13:14], v[23:24]
	v_fma_f64 v[13:14], v[25:26], v[13:14], -v[0:1]
	v_add_co_u32_e32 v23, vcc, s2, v4
	v_addc_co_u32_e32 v24, vcc, 0, v5, vcc
	v_fma_f64 v[0:1], -v[25:26], v[11:12], v[2:3]
	v_fma_f64 v[2:3], v[27:28], v[11:12], v[6:7]
	v_fma_f64 v[6:7], v[25:26], v[11:12], v[8:9]
	v_fma_f64 v[8:9], v[27:28], v[11:12], v[13:14]
	ds_write_b128 v96, v[0:3] offset:1792
	ds_write_b128 v10, v[6:9] offset:17024
	ds_read_b128 v[0:3], v96 offset:2688
	ds_read_b128 v[6:9], v10 offset:16128
	global_load_dwordx4 v[11:14], v[23:24], off offset:384
	s_waitcnt lgkmcnt(0)
	v_add_f64 v[25:26], v[0:1], v[6:7]
	v_add_f64 v[27:28], v[8:9], v[2:3]
	v_add_f64 v[29:30], v[0:1], -v[6:7]
	v_add_f64 v[0:1], v[2:3], -v[8:9]
	s_waitcnt vmcnt(2)
	v_fma_f64 v[2:3], v[29:30], v[21:22], v[25:26]
	v_fma_f64 v[6:7], v[27:28], v[21:22], v[0:1]
	v_fma_f64 v[8:9], -v[29:30], v[21:22], v[25:26]
	v_fma_f64 v[21:22], v[27:28], v[21:22], -v[0:1]
	v_fma_f64 v[0:1], -v[27:28], v[19:20], v[2:3]
	v_fma_f64 v[2:3], v[29:30], v[19:20], v[6:7]
	v_fma_f64 v[6:7], v[27:28], v[19:20], v[8:9]
	v_fma_f64 v[8:9], v[29:30], v[19:20], v[21:22]
	ds_write_b128 v96, v[0:3] offset:2688
	ds_write_b128 v10, v[6:9] offset:16128
	ds_read_b128 v[0:3], v96 offset:3584
	ds_read_b128 v[6:9], v10 offset:15232
	global_load_dwordx4 v[19:22], v[23:24], off offset:1280
	s_waitcnt lgkmcnt(0)
	v_add_f64 v[25:26], v[0:1], v[6:7]
	v_add_f64 v[27:28], v[8:9], v[2:3]
	v_add_f64 v[29:30], v[0:1], -v[6:7]
	v_add_f64 v[0:1], v[2:3], -v[8:9]
	s_waitcnt vmcnt(2)
	v_fma_f64 v[2:3], v[29:30], v[17:18], v[25:26]
	v_fma_f64 v[6:7], v[27:28], v[17:18], v[0:1]
	v_fma_f64 v[8:9], -v[29:30], v[17:18], v[25:26]
	v_fma_f64 v[17:18], v[27:28], v[17:18], -v[0:1]
	;; [unrolled: 19-line block ×3, first 2 shown]
	v_fma_f64 v[0:1], -v[27:28], v[11:12], v[2:3]
	v_fma_f64 v[2:3], v[29:30], v[11:12], v[6:7]
	v_fma_f64 v[6:7], v[27:28], v[11:12], v[8:9]
	;; [unrolled: 1-line block ×3, first 2 shown]
	v_lshlrev_b64 v[11:12], 4, v[88:89]
	v_mov_b32_e32 v13, s5
	v_add_co_u32_e32 v11, vcc, s4, v11
	ds_write_b128 v96, v[0:3] offset:4480
	ds_write_b128 v10, v[6:9] offset:14336
	v_addc_co_u32_e32 v12, vcc, v13, v12, vcc
	ds_read_b128 v[0:3], v96 offset:5376
	ds_read_b128 v[6:9], v10 offset:13440
	global_load_dwordx4 v[11:14], v[11:12], off
	v_cmp_gt_u32_e32 vcc, 28, v92
	s_waitcnt lgkmcnt(0)
	v_add_f64 v[25:26], v[0:1], v[6:7]
	v_add_f64 v[27:28], v[8:9], v[2:3]
	v_add_f64 v[29:30], v[0:1], -v[6:7]
	v_add_f64 v[0:1], v[2:3], -v[8:9]
	s_waitcnt vmcnt(2)
	v_fma_f64 v[2:3], v[29:30], v[21:22], v[25:26]
	v_fma_f64 v[6:7], v[27:28], v[21:22], v[0:1]
	v_fma_f64 v[8:9], -v[29:30], v[21:22], v[25:26]
	v_fma_f64 v[21:22], v[27:28], v[21:22], -v[0:1]
	v_fma_f64 v[0:1], -v[27:28], v[19:20], v[2:3]
	v_fma_f64 v[2:3], v[29:30], v[19:20], v[6:7]
	v_fma_f64 v[6:7], v[27:28], v[19:20], v[8:9]
	v_fma_f64 v[8:9], v[29:30], v[19:20], v[21:22]
	ds_write_b128 v96, v[0:3] offset:5376
	ds_write_b128 v10, v[6:9] offset:13440
	ds_read_b128 v[0:3], v96 offset:6272
	ds_read_b128 v[6:9], v10 offset:12544
	global_load_dwordx4 v[19:22], v[23:24], off offset:3968
	s_waitcnt lgkmcnt(0)
	v_add_f64 v[23:24], v[0:1], v[6:7]
	v_add_f64 v[25:26], v[8:9], v[2:3]
	v_add_f64 v[27:28], v[0:1], -v[6:7]
	v_add_f64 v[0:1], v[2:3], -v[8:9]
	s_waitcnt vmcnt(2)
	v_fma_f64 v[2:3], v[27:28], v[17:18], v[23:24]
	v_fma_f64 v[6:7], v[25:26], v[17:18], v[0:1]
	v_fma_f64 v[8:9], -v[27:28], v[17:18], v[23:24]
	v_fma_f64 v[17:18], v[25:26], v[17:18], -v[0:1]
	v_fma_f64 v[0:1], -v[25:26], v[15:16], v[2:3]
	v_fma_f64 v[2:3], v[27:28], v[15:16], v[6:7]
	v_fma_f64 v[6:7], v[25:26], v[15:16], v[8:9]
	;; [unrolled: 1-line block ×3, first 2 shown]
	ds_write_b128 v96, v[0:3] offset:6272
	ds_write_b128 v10, v[6:9] offset:12544
	ds_read_b128 v[0:3], v96 offset:7168
	ds_read_b128 v[6:9], v10 offset:11648
	s_waitcnt lgkmcnt(0)
	v_add_f64 v[15:16], v[0:1], v[6:7]
	v_add_f64 v[17:18], v[8:9], v[2:3]
	v_add_f64 v[23:24], v[0:1], -v[6:7]
	v_add_f64 v[0:1], v[2:3], -v[8:9]
	s_waitcnt vmcnt(1)
	v_fma_f64 v[2:3], v[23:24], v[13:14], v[15:16]
	v_fma_f64 v[6:7], v[17:18], v[13:14], v[0:1]
	v_fma_f64 v[8:9], -v[23:24], v[13:14], v[15:16]
	v_fma_f64 v[13:14], v[17:18], v[13:14], -v[0:1]
	v_fma_f64 v[0:1], -v[17:18], v[11:12], v[2:3]
	v_fma_f64 v[2:3], v[23:24], v[11:12], v[6:7]
	v_fma_f64 v[6:7], v[17:18], v[11:12], v[8:9]
	;; [unrolled: 1-line block ×3, first 2 shown]
	ds_write_b128 v96, v[0:3] offset:7168
	ds_write_b128 v10, v[6:9] offset:11648
	ds_read_b128 v[0:3], v96 offset:8064
	ds_read_b128 v[6:9], v10 offset:10752
	s_waitcnt lgkmcnt(0)
	v_add_f64 v[11:12], v[0:1], v[6:7]
	v_add_f64 v[13:14], v[8:9], v[2:3]
	v_add_f64 v[15:16], v[0:1], -v[6:7]
	v_add_f64 v[0:1], v[2:3], -v[8:9]
	s_waitcnt vmcnt(0)
	v_fma_f64 v[2:3], v[15:16], v[21:22], v[11:12]
	v_fma_f64 v[6:7], v[13:14], v[21:22], v[0:1]
	v_fma_f64 v[8:9], -v[15:16], v[21:22], v[11:12]
	v_fma_f64 v[11:12], v[13:14], v[21:22], -v[0:1]
	v_fma_f64 v[0:1], -v[13:14], v[19:20], v[2:3]
	v_fma_f64 v[2:3], v[15:16], v[19:20], v[6:7]
	v_fma_f64 v[6:7], v[13:14], v[19:20], v[8:9]
	;; [unrolled: 1-line block ×3, first 2 shown]
	ds_write_b128 v96, v[0:3] offset:8064
	ds_write_b128 v10, v[6:9] offset:10752
	s_and_saveexec_b64 s[4:5], vcc
	s_cbranch_execz .LBB0_19
; %bb.18:
	s_movk_i32 s2, 0x2000
	v_add_co_u32_e64 v0, s[2:3], s2, v4
	v_addc_co_u32_e64 v1, s[2:3], 0, v5, s[2:3]
	global_load_dwordx4 v[0:3], v[0:1], off offset:768
	ds_read_b128 v[4:7], v96 offset:8960
	ds_read_b128 v[11:14], v10 offset:9856
	s_waitcnt lgkmcnt(0)
	v_add_f64 v[8:9], v[4:5], v[11:12]
	v_add_f64 v[15:16], v[13:14], v[6:7]
	v_add_f64 v[11:12], v[4:5], -v[11:12]
	v_add_f64 v[4:5], v[6:7], -v[13:14]
	s_waitcnt vmcnt(0)
	v_fma_f64 v[6:7], v[11:12], v[2:3], v[8:9]
	v_fma_f64 v[13:14], v[15:16], v[2:3], v[4:5]
	v_fma_f64 v[8:9], -v[11:12], v[2:3], v[8:9]
	v_fma_f64 v[17:18], v[15:16], v[2:3], -v[4:5]
	v_fma_f64 v[2:3], -v[15:16], v[0:1], v[6:7]
	v_fma_f64 v[4:5], v[11:12], v[0:1], v[13:14]
	v_fma_f64 v[6:7], v[15:16], v[0:1], v[8:9]
	;; [unrolled: 1-line block ×3, first 2 shown]
	ds_write_b128 v96, v[2:5] offset:8960
	ds_write_b128 v10, v[6:9] offset:9856
.LBB0_19:
	s_or_b64 exec, exec, s[4:5]
	s_waitcnt lgkmcnt(0)
	; wave barrier
	s_waitcnt lgkmcnt(0)
	s_waitcnt lgkmcnt(0)
	; wave barrier
	s_waitcnt lgkmcnt(0)
	ds_read_b128 v[0:3], v96 offset:9408
	ds_read_b128 v[4:7], v96
	ds_read_b128 v[8:11], v96 offset:896
	ds_read_b128 v[12:15], v96 offset:8960
	;; [unrolled: 1-line block ×4, first 2 shown]
	v_lshl_add_u32 v89, v92, 5, 0
	s_waitcnt lgkmcnt(4)
	v_add_f64 v[0:1], v[4:5], -v[0:1]
	v_add_f64 v[2:3], v[6:7], -v[2:3]
	s_waitcnt lgkmcnt(1)
	v_add_f64 v[16:17], v[8:9], -v[16:17]
	v_add_f64 v[18:19], v[10:11], -v[18:19]
	ds_read_b128 v[24:27], v96 offset:1792
	ds_read_b128 v[28:31], v96 offset:2688
	;; [unrolled: 1-line block ×16, first 2 shown]
	s_waitcnt lgkmcnt(0)
	; wave barrier
	s_waitcnt lgkmcnt(0)
	v_add_u32_e32 v97, 56, v92
	v_fma_f64 v[4:5], v[4:5], 2.0, -v[0:1]
	v_fma_f64 v[6:7], v[6:7], 2.0, -v[2:3]
	;; [unrolled: 1-line block ×4, first 2 shown]
	ds_write_b128 v89, v[0:3] offset:16
	v_add_f64 v[0:1], v[28:29], -v[32:33]
	v_add_f64 v[2:3], v[30:31], -v[34:35]
	v_add_u32_e32 v93, 0x70, v92
	v_add_u32_e32 v98, 0xa8, v92
	ds_write_b128 v89, v[4:7]
	v_add_f64 v[4:5], v[24:25], -v[20:21]
	v_add_f64 v[6:7], v[26:27], -v[22:23]
	v_add_u32_e32 v99, 0xe0, v92
	v_add_u32_e32 v100, 0x118, v92
	v_add_u32_e32 v101, 0x150, v92
	v_add_u32_e32 v90, 0x188, v92
	v_add_u32_e32 v91, 0x1f8, v92
	v_add_u32_e32 v89, 0x230, v92
	v_fma_f64 v[20:21], v[24:25], 2.0, -v[4:5]
	v_fma_f64 v[22:23], v[26:27], 2.0, -v[6:7]
	v_lshl_add_u32 v24, v97, 5, 0
	ds_write_b128 v24, v[8:11]
	ds_write_b128 v24, v[16:19] offset:16
	v_fma_f64 v[8:9], v[28:29], 2.0, -v[0:1]
	v_fma_f64 v[10:11], v[30:31], 2.0, -v[2:3]
	v_add_f64 v[16:17], v[40:41], -v[36:37]
	v_add_f64 v[18:19], v[42:43], -v[38:39]
	v_lshl_add_u32 v24, v93, 5, 0
	ds_write_b128 v24, v[20:23]
	v_lshl_add_u32 v20, v98, 5, 0
	ds_write_b128 v24, v[4:7] offset:16
	v_add_f64 v[4:5], v[44:45], -v[48:49]
	ds_write_b128 v20, v[8:11]
	v_add_f64 v[6:7], v[46:47], -v[50:51]
	v_fma_f64 v[8:9], v[40:41], 2.0, -v[16:17]
	v_fma_f64 v[10:11], v[42:43], 2.0, -v[18:19]
	ds_write_b128 v20, v[0:3] offset:16
	v_add_f64 v[0:1], v[56:57], -v[52:53]
	v_add_f64 v[2:3], v[58:59], -v[54:55]
	v_lshl_add_u32 v24, v99, 5, 0
	v_fma_f64 v[20:21], v[44:45], 2.0, -v[4:5]
	v_fma_f64 v[22:23], v[46:47], 2.0, -v[6:7]
	ds_write_b128 v24, v[8:11]
	ds_write_b128 v24, v[16:19] offset:16
	v_add_f64 v[16:17], v[60:61], -v[64:65]
	v_fma_f64 v[8:9], v[56:57], 2.0, -v[0:1]
	v_fma_f64 v[10:11], v[58:59], 2.0, -v[2:3]
	v_add_f64 v[18:19], v[62:63], -v[66:67]
	v_lshl_add_u32 v24, v100, 5, 0
	ds_write_b128 v24, v[4:7] offset:16
	v_lshl_add_u32 v4, v101, 5, 0
	ds_write_b128 v24, v[20:23]
	ds_write_b128 v4, v[8:11]
	ds_write_b128 v4, v[0:3] offset:16
	v_add_f64 v[8:9], v[72:73], -v[68:69]
	v_add_f64 v[10:11], v[74:75], -v[70:71]
	v_fma_f64 v[0:1], v[60:61], 2.0, -v[16:17]
	v_fma_f64 v[2:3], v[62:63], 2.0, -v[18:19]
	v_add_f64 v[20:21], v[76:77], -v[80:81]
	v_add_f64 v[22:23], v[78:79], -v[82:83]
	;; [unrolled: 1-line block ×4, first 2 shown]
	v_lshl_add_u32 v28, v90, 5, 0
	v_fma_f64 v[24:25], v[72:73], 2.0, -v[8:9]
	v_fma_f64 v[26:27], v[74:75], 2.0, -v[10:11]
	ds_write_b128 v28, v[0:3]
	ds_write_b128 v28, v[16:19] offset:16
	v_fma_f64 v[16:17], v[76:77], 2.0, -v[20:21]
	v_fma_f64 v[18:19], v[78:79], 2.0, -v[22:23]
	;; [unrolled: 1-line block ×4, first 2 shown]
	v_lshl_add_u32 v28, v88, 5, 0
	ds_write_b128 v28, v[24:27]
	ds_write_b128 v28, v[8:11] offset:16
	v_lshl_add_u32 v8, v91, 5, 0
	ds_write_b128 v8, v[20:23] offset:16
	ds_write_b128 v8, v[16:19]
	s_and_saveexec_b64 s[2:3], vcc
	s_cbranch_execz .LBB0_21
; %bb.20:
	v_lshl_add_u32 v8, v89, 5, 0
	ds_write_b128 v8, v[0:3]
	ds_write_b128 v8, v[4:7] offset:16
.LBB0_21:
	s_or_b64 exec, exec, s[2:3]
	s_waitcnt lgkmcnt(0)
	; wave barrier
	s_waitcnt lgkmcnt(0)
	ds_read_b128 v[44:47], v96
	ds_read_b128 v[40:43], v96 offset:896
	ds_read_b128 v[84:87], v96 offset:9408
	;; [unrolled: 1-line block ×19, first 2 shown]
	v_lshlrev_b32_e32 v111, 1, v92
	v_lshlrev_b32_e32 v110, 1, v97
	v_lshlrev_b32_e32 v109, 1, v93
	v_lshlrev_b32_e32 v108, 1, v98
	v_lshlrev_b32_e32 v107, 1, v99
	v_lshlrev_b32_e32 v105, 1, v100
	v_lshlrev_b32_e32 v106, 1, v101
	v_lshlrev_b32_e32 v104, 1, v90
	v_lshlrev_b32_e32 v103, 1, v88
	v_lshlrev_b32_e32 v102, 1, v91
	s_and_saveexec_b64 s[2:3], vcc
	s_cbranch_execz .LBB0_23
; %bb.22:
	ds_read_b128 v[0:3], v96 offset:8960
	ds_read_b128 v[4:7], v96 offset:18368
.LBB0_23:
	s_or_b64 exec, exec, s[2:3]
	v_and_b32_e32 v88, 1, v92
	v_lshlrev_b32_e32 v90, 4, v88
	global_load_dwordx4 v[112:115], v90, s[8:9]
	s_movk_i32 s2, 0x7c
	s_waitcnt lgkmcnt(0)
	; wave barrier
	s_waitcnt lgkmcnt(0)
	s_movk_i32 s3, 0x2fc
	s_waitcnt vmcnt(0)
	v_mul_f64 v[90:91], v[86:87], v[114:115]
	v_fma_f64 v[90:91], v[84:85], v[112:113], -v[90:91]
	v_mul_f64 v[84:85], v[84:85], v[114:115]
	v_fma_f64 v[84:85], v[86:87], v[112:113], v[84:85]
	v_mul_f64 v[86:87], v[78:79], v[114:115]
	v_fma_f64 v[86:87], v[76:77], v[112:113], -v[86:87]
	v_mul_f64 v[76:77], v[76:77], v[114:115]
	v_fma_f64 v[76:77], v[78:79], v[112:113], v[76:77]
	;; [unrolled: 4-line block ×4, first 2 shown]
	v_mul_f64 v[68:69], v[74:75], v[114:115]
	v_fma_f64 v[118:119], v[72:73], v[112:113], -v[68:69]
	v_mul_f64 v[68:69], v[72:73], v[114:115]
	v_add_f64 v[72:73], v[36:37], -v[78:79]
	v_fma_f64 v[120:121], v[74:75], v[112:113], v[68:69]
	v_mul_f64 v[68:69], v[62:63], v[114:115]
	v_add_f64 v[74:75], v[38:39], -v[80:81]
	v_add_f64 v[80:81], v[32:33], -v[82:83]
	;; [unrolled: 1-line block ×3, first 2 shown]
	v_fma_f64 v[122:123], v[60:61], v[112:113], -v[68:69]
	v_mul_f64 v[60:61], v[60:61], v[114:115]
	v_fma_f64 v[78:79], v[38:39], 2.0, -v[74:75]
	v_fma_f64 v[124:125], v[62:63], v[112:113], v[60:61]
	v_mul_f64 v[60:61], v[66:67], v[114:115]
	v_fma_f64 v[126:127], v[64:65], v[112:113], -v[60:61]
	v_mul_f64 v[60:61], v[64:65], v[114:115]
	v_add_f64 v[64:65], v[40:41], -v[86:87]
	v_fma_f64 v[86:87], v[34:35], 2.0, -v[82:83]
	v_fma_f64 v[128:129], v[66:67], v[112:113], v[60:61]
	v_mul_f64 v[60:61], v[54:55], v[114:115]
	v_add_f64 v[66:67], v[42:43], -v[76:77]
	v_fma_f64 v[68:69], v[40:41], 2.0, -v[64:65]
	v_add_f64 v[40:41], v[24:25], -v[122:123]
	v_fma_f64 v[76:77], v[36:37], 2.0, -v[72:73]
	v_add_f64 v[34:35], v[22:23], -v[128:129]
	v_fma_f64 v[130:131], v[52:53], v[112:113], -v[60:61]
	v_mul_f64 v[52:53], v[52:53], v[114:115]
	v_fma_f64 v[70:71], v[42:43], 2.0, -v[66:67]
	v_add_f64 v[42:43], v[26:27], -v[124:125]
	v_fma_f64 v[38:39], v[22:23], 2.0, -v[34:35]
	v_fma_f64 v[132:133], v[54:55], v[112:113], v[52:53]
	v_mul_f64 v[52:53], v[58:59], v[114:115]
	v_fma_f64 v[134:135], v[56:57], v[112:113], -v[52:53]
	v_mul_f64 v[52:53], v[56:57], v[114:115]
	v_add_f64 v[56:57], v[44:45], -v[90:91]
	v_and_or_b32 v90, v111, s2, v88
	v_lshl_add_u32 v90, v90, 4, 0
	s_movk_i32 s2, 0xfc
	v_fma_f64 v[136:137], v[58:59], v[112:113], v[52:53]
	v_mul_f64 v[52:53], v[50:51], v[114:115]
	v_add_f64 v[58:59], v[46:47], -v[84:85]
	v_fma_f64 v[60:61], v[44:45], 2.0, -v[56:57]
	v_fma_f64 v[44:45], v[24:25], 2.0, -v[40:41]
	v_add_f64 v[24:25], v[16:17], -v[130:131]
	v_fma_f64 v[84:85], v[32:33], 2.0, -v[80:81]
	v_add_f64 v[32:33], v[20:21], -v[126:127]
	v_fma_f64 v[138:139], v[48:49], v[112:113], -v[52:53]
	v_mul_f64 v[48:49], v[48:49], v[114:115]
	v_fma_f64 v[62:63], v[46:47], 2.0, -v[58:59]
	v_fma_f64 v[46:47], v[26:27], 2.0, -v[42:43]
	v_add_f64 v[26:27], v[18:19], -v[132:133]
	ds_write_b128 v90, v[60:63]
	ds_write_b128 v90, v[56:59] offset:32
	v_fma_f64 v[140:141], v[50:51], v[112:113], v[48:49]
	v_mul_f64 v[48:49], v[6:7], v[114:115]
	v_add_f64 v[50:51], v[30:31], -v[120:121]
	v_and_or_b32 v56, v110, s2, v88
	v_lshl_add_u32 v56, v56, 4, 0
	s_movk_i32 s2, 0x1fc
	v_fma_f64 v[36:37], v[20:21], 2.0, -v[32:33]
	ds_write_b128 v56, v[68:71]
	ds_write_b128 v56, v[64:67] offset:32
	v_and_or_b32 v56, v109, s2, v88
	v_fma_f64 v[142:143], v[4:5], v[112:113], -v[48:49]
	v_mul_f64 v[4:5], v[4:5], v[114:115]
	v_add_f64 v[48:49], v[28:29], -v[118:119]
	v_fma_f64 v[54:55], v[30:31], 2.0, -v[50:51]
	v_fma_f64 v[30:31], v[18:19], 2.0, -v[26:27]
	v_add_f64 v[18:19], v[10:11], -v[136:137]
	v_lshl_add_u32 v56, v56, 4, 0
	ds_write_b128 v56, v[76:79]
	ds_write_b128 v56, v[72:75] offset:32
	v_and_or_b32 v56, v108, s2, v88
	v_fma_f64 v[6:7], v[6:7], v[112:113], v[4:5]
	v_fma_f64 v[52:53], v[28:29], 2.0, -v[48:49]
	v_fma_f64 v[28:29], v[16:17], 2.0, -v[24:25]
	v_add_f64 v[16:17], v[8:9], -v[134:135]
	v_fma_f64 v[22:23], v[10:11], 2.0, -v[18:19]
	v_add_f64 v[10:11], v[14:15], -v[140:141]
	v_add_f64 v[4:5], v[0:1], -v[142:143]
	v_lshl_add_u32 v56, v56, 4, 0
	v_add_f64 v[6:7], v[2:3], -v[6:7]
	s_movk_i32 s2, 0x3fc
	ds_write_b128 v56, v[84:87]
	ds_write_b128 v56, v[80:83] offset:32
	v_fma_f64 v[20:21], v[8:9], 2.0, -v[16:17]
	v_add_f64 v[8:9], v[12:13], -v[138:139]
	v_and_or_b32 v56, v107, s2, v88
	v_lshl_add_u32 v56, v56, 4, 0
	ds_write_b128 v56, v[52:55]
	ds_write_b128 v56, v[48:51] offset:32
	v_and_or_b32 v48, v105, s3, v88
	v_lshl_add_u32 v48, v48, 4, 0
	v_fma_f64 v[14:15], v[14:15], 2.0, -v[10:11]
	v_fma_f64 v[0:1], v[0:1], 2.0, -v[4:5]
	v_fma_f64 v[12:13], v[12:13], 2.0, -v[8:9]
	v_fma_f64 v[2:3], v[2:3], 2.0, -v[6:7]
	ds_write_b128 v48, v[44:47]
	ds_write_b128 v48, v[40:43] offset:32
	v_and_or_b32 v40, v106, s2, v88
	v_lshl_add_u32 v40, v40, 4, 0
	ds_write_b128 v40, v[36:39]
	ds_write_b128 v40, v[32:35] offset:32
	v_and_or_b32 v32, v104, s2, v88
	v_lshl_add_u32 v32, v32, 4, 0
	;; [unrolled: 4-line block ×3, first 2 shown]
	s_movk_i32 s2, 0x7fc
	ds_write_b128 v24, v[20:23]
	ds_write_b128 v24, v[16:19] offset:32
	v_and_or_b32 v16, v102, s2, v88
	v_lshl_add_u32 v16, v16, 4, 0
	v_lshlrev_b32_e32 v112, 1, v89
	ds_write_b128 v16, v[12:15]
	ds_write_b128 v16, v[8:11] offset:32
	s_and_saveexec_b64 s[2:3], vcc
	s_cbranch_execz .LBB0_25
; %bb.24:
	s_movk_i32 s4, 0x4fc
	v_and_or_b32 v8, v112, s4, v88
	v_lshl_add_u32 v8, v8, 4, 0
	ds_write_b128 v8, v[0:3]
	ds_write_b128 v8, v[4:7] offset:32
.LBB0_25:
	s_or_b64 exec, exec, s[2:3]
	s_waitcnt lgkmcnt(0)
	; wave barrier
	s_waitcnt lgkmcnt(0)
	ds_read_b128 v[48:51], v96
	ds_read_b128 v[44:47], v96 offset:896
	ds_read_b128 v[88:91], v96 offset:9408
	;; [unrolled: 1-line block ×19, first 2 shown]
	s_and_saveexec_b64 s[2:3], vcc
	s_cbranch_execz .LBB0_27
; %bb.26:
	ds_read_b128 v[0:3], v96 offset:8960
	ds_read_b128 v[4:7], v96 offset:18368
.LBB0_27:
	s_or_b64 exec, exec, s[2:3]
	v_and_b32_e32 v113, 3, v92
	v_lshlrev_b32_e32 v8, 4, v113
	global_load_dwordx4 v[8:11], v8, s[8:9] offset:32
	s_movk_i32 s2, 0x78
	v_and_or_b32 v111, v111, s2, v113
	v_lshl_add_u32 v111, v111, 4, 0
	s_movk_i32 s2, 0xf8
	s_waitcnt lgkmcnt(0)
	; wave barrier
	s_waitcnt lgkmcnt(0)
	s_movk_i32 s3, 0x2f8
	s_waitcnt vmcnt(0)
	v_mul_f64 v[114:115], v[90:91], v[10:11]
	v_fma_f64 v[114:115], v[88:89], v[8:9], -v[114:115]
	v_mul_f64 v[88:89], v[88:89], v[10:11]
	v_fma_f64 v[88:89], v[90:91], v[8:9], v[88:89]
	v_mul_f64 v[90:91], v[82:83], v[10:11]
	v_fma_f64 v[90:91], v[80:81], v[8:9], -v[90:91]
	v_mul_f64 v[80:81], v[80:81], v[10:11]
	v_fma_f64 v[80:81], v[82:83], v[8:9], v[80:81]
	v_mul_f64 v[82:83], v[86:87], v[10:11]
	v_fma_f64 v[82:83], v[84:85], v[8:9], -v[82:83]
	v_mul_f64 v[84:85], v[84:85], v[10:11]
	v_fma_f64 v[84:85], v[86:87], v[8:9], v[84:85]
	v_mul_f64 v[86:87], v[74:75], v[10:11]
	v_fma_f64 v[86:87], v[72:73], v[8:9], -v[86:87]
	v_mul_f64 v[72:73], v[72:73], v[10:11]
	v_fma_f64 v[72:73], v[74:75], v[8:9], v[72:73]
	v_mul_f64 v[74:75], v[78:79], v[10:11]
	v_fma_f64 v[116:117], v[76:77], v[8:9], -v[74:75]
	v_mul_f64 v[74:75], v[76:77], v[10:11]
	v_add_f64 v[76:77], v[32:33], -v[116:117]
	v_fma_f64 v[78:79], v[78:79], v[8:9], v[74:75]
	v_mul_f64 v[74:75], v[66:67], v[10:11]
	v_add_f64 v[78:79], v[34:35], -v[78:79]
	v_fma_f64 v[118:119], v[64:65], v[8:9], -v[74:75]
	v_mul_f64 v[64:65], v[64:65], v[10:11]
	v_fma_f64 v[120:121], v[66:67], v[8:9], v[64:65]
	v_mul_f64 v[64:65], v[70:71], v[10:11]
	v_fma_f64 v[122:123], v[68:69], v[8:9], -v[64:65]
	v_mul_f64 v[64:65], v[68:69], v[10:11]
	v_add_f64 v[68:69], v[36:37], -v[86:87]
	v_add_f64 v[86:87], v[30:31], -v[120:121]
	v_fma_f64 v[124:125], v[70:71], v[8:9], v[64:65]
	v_mul_f64 v[64:65], v[58:59], v[10:11]
	v_add_f64 v[70:71], v[38:39], -v[72:73]
	v_fma_f64 v[72:73], v[36:37], 2.0, -v[68:69]
	v_add_f64 v[36:37], v[24:25], -v[122:123]
	v_fma_f64 v[126:127], v[56:57], v[8:9], -v[64:65]
	v_mul_f64 v[56:57], v[56:57], v[10:11]
	v_fma_f64 v[74:75], v[38:39], 2.0, -v[70:71]
	v_add_f64 v[38:39], v[26:27], -v[124:125]
	v_fma_f64 v[128:129], v[58:59], v[8:9], v[56:57]
	v_mul_f64 v[56:57], v[62:63], v[10:11]
	v_add_f64 v[58:59], v[46:47], -v[80:81]
	v_fma_f64 v[80:81], v[32:33], 2.0, -v[76:77]
	v_fma_f64 v[130:131], v[60:61], v[8:9], -v[56:57]
	v_mul_f64 v[56:57], v[60:61], v[10:11]
	v_add_f64 v[60:61], v[40:41], -v[82:83]
	v_fma_f64 v[46:47], v[46:47], 2.0, -v[58:59]
	v_fma_f64 v[82:83], v[34:35], 2.0, -v[78:79]
	v_fma_f64 v[132:133], v[62:63], v[8:9], v[56:57]
	v_mul_f64 v[56:57], v[54:55], v[10:11]
	v_add_f64 v[62:63], v[42:43], -v[84:85]
	v_add_f64 v[84:85], v[28:29], -v[118:119]
	v_fma_f64 v[64:65], v[40:41], 2.0, -v[60:61]
	v_fma_f64 v[40:41], v[24:25], 2.0, -v[36:37]
	v_fma_f64 v[134:135], v[52:53], v[8:9], -v[56:57]
	v_mul_f64 v[52:53], v[52:53], v[10:11]
	v_add_f64 v[56:57], v[44:45], -v[90:91]
	v_fma_f64 v[90:91], v[30:31], 2.0, -v[86:87]
	v_add_f64 v[30:31], v[22:23], -v[128:129]
	v_fma_f64 v[66:67], v[42:43], 2.0, -v[62:63]
	v_fma_f64 v[42:43], v[26:27], 2.0, -v[38:39]
	v_fma_f64 v[136:137], v[54:55], v[8:9], v[52:53]
	v_add_f64 v[52:53], v[48:49], -v[114:115]
	v_add_f64 v[54:55], v[50:51], -v[88:89]
	v_fma_f64 v[88:89], v[28:29], 2.0, -v[84:85]
	v_add_f64 v[28:29], v[20:21], -v[126:127]
	v_fma_f64 v[44:45], v[44:45], 2.0, -v[56:57]
	v_fma_f64 v[34:35], v[22:23], 2.0, -v[30:31]
	v_add_f64 v[22:23], v[14:15], -v[132:133]
	v_fma_f64 v[48:49], v[48:49], 2.0, -v[52:53]
	v_fma_f64 v[50:51], v[50:51], 2.0, -v[54:55]
	ds_write_b128 v111, v[48:51]
	ds_write_b128 v111, v[52:55] offset:64
	v_fma_f64 v[32:33], v[20:21], 2.0, -v[28:29]
	v_add_f64 v[20:21], v[12:13], -v[130:131]
	v_and_or_b32 v48, v110, s2, v113
	v_lshl_add_u32 v48, v48, 4, 0
	s_movk_i32 s2, 0x1f8
	v_fma_f64 v[26:27], v[14:15], 2.0, -v[22:23]
	v_add_f64 v[14:15], v[18:19], -v[136:137]
	ds_write_b128 v48, v[44:47]
	ds_write_b128 v48, v[56:59] offset:64
	v_and_or_b32 v44, v109, s2, v113
	v_fma_f64 v[24:25], v[12:13], 2.0, -v[20:21]
	v_add_f64 v[12:13], v[16:17], -v[134:135]
	v_lshl_add_u32 v44, v44, 4, 0
	ds_write_b128 v44, v[64:67]
	ds_write_b128 v44, v[60:63] offset:64
	v_and_or_b32 v44, v108, s2, v113
	v_lshl_add_u32 v44, v44, 4, 0
	s_movk_i32 s2, 0x3f8
	ds_write_b128 v44, v[72:75]
	ds_write_b128 v44, v[68:71] offset:64
	v_and_or_b32 v44, v107, s2, v113
	v_lshl_add_u32 v44, v44, 4, 0
	ds_write_b128 v44, v[80:83]
	ds_write_b128 v44, v[76:79] offset:64
	v_and_or_b32 v44, v105, s3, v113
	v_lshl_add_u32 v44, v44, 4, 0
	v_fma_f64 v[16:17], v[16:17], 2.0, -v[12:13]
	v_fma_f64 v[18:19], v[18:19], 2.0, -v[14:15]
	ds_write_b128 v44, v[88:91]
	ds_write_b128 v44, v[84:87] offset:64
	v_and_or_b32 v44, v106, s2, v113
	v_lshl_add_u32 v44, v44, 4, 0
	ds_write_b128 v44, v[40:43]
	ds_write_b128 v44, v[36:39] offset:64
	v_and_or_b32 v36, v104, s2, v113
	v_lshl_add_u32 v36, v36, 4, 0
	;; [unrolled: 4-line block ×3, first 2 shown]
	s_movk_i32 s2, 0x7f8
	ds_write_b128 v28, v[24:27]
	ds_write_b128 v28, v[20:23] offset:64
	v_and_or_b32 v20, v102, s2, v113
	v_lshl_add_u32 v20, v20, 4, 0
	ds_write_b128 v20, v[16:19]
	ds_write_b128 v20, v[12:15] offset:64
	s_and_saveexec_b64 s[2:3], vcc
	s_cbranch_execz .LBB0_29
; %bb.28:
	v_mul_f64 v[12:13], v[4:5], v[10:11]
	v_mul_f64 v[10:11], v[6:7], v[10:11]
	s_movk_i32 s4, 0x4f8
	v_fma_f64 v[6:7], v[6:7], v[8:9], v[12:13]
	v_fma_f64 v[4:5], v[4:5], v[8:9], -v[10:11]
	v_and_or_b32 v8, v112, s4, v113
	v_lshl_add_u32 v8, v8, 4, 0
	v_add_f64 v[6:7], v[2:3], -v[6:7]
	v_add_f64 v[4:5], v[0:1], -v[4:5]
	v_fma_f64 v[2:3], v[2:3], 2.0, -v[6:7]
	v_fma_f64 v[0:1], v[0:1], 2.0, -v[4:5]
	ds_write_b128 v8, v[0:3]
	ds_write_b128 v8, v[4:7] offset:64
.LBB0_29:
	s_or_b64 exec, exec, s[2:3]
	v_and_b32_e32 v0, 7, v92
	v_lshlrev_b32_e32 v9, 5, v0
	s_waitcnt lgkmcnt(0)
	; wave barrier
	s_waitcnt lgkmcnt(0)
	global_load_dwordx4 v[1:4], v9, s[8:9] offset:96
	global_load_dwordx4 v[5:8], v9, s[8:9] offset:112
	ds_read_b128 v[9:12], v96
	ds_read_b128 v[13:16], v96 offset:896
	ds_read_b128 v[17:20], v96 offset:12544
	;; [unrolled: 1-line block ×20, first 2 shown]
	s_mov_b32 s2, 0xe8584caa
	s_mov_b32 s3, 0x3febb67a
	;; [unrolled: 1-line block ×4, first 2 shown]
	s_waitcnt lgkmcnt(0)
	; wave barrier
	s_waitcnt lgkmcnt(0)
	s_mov_b32 s10, 0xe976ee23
	s_mov_b32 s6, 0x429ad128
	;; [unrolled: 1-line block ×16, first 2 shown]
	s_waitcnt vmcnt(1)
	v_mul_f64 v[89:90], v[75:76], v[3:4]
	v_mul_f64 v[106:107], v[73:74], v[3:4]
	s_waitcnt vmcnt(0)
	v_mul_f64 v[108:109], v[19:20], v[7:8]
	v_mul_f64 v[110:111], v[17:18], v[7:8]
	;; [unrolled: 1-line block ×9, first 2 shown]
	v_fma_f64 v[73:74], v[73:74], v[1:2], -v[89:90]
	v_fma_f64 v[75:76], v[75:76], v[1:2], v[106:107]
	v_mul_f64 v[89:90], v[41:42], v[7:8]
	v_mul_f64 v[106:107], v[51:52], v[3:4]
	v_fma_f64 v[17:18], v[17:18], v[5:6], -v[108:109]
	v_fma_f64 v[19:20], v[19:20], v[5:6], v[110:111]
	v_mul_f64 v[108:109], v[49:50], v[3:4]
	v_mul_f64 v[110:111], v[47:48], v[7:8]
	;; [unrolled: 4-line block ×7, first 2 shown]
	v_fma_f64 v[45:46], v[45:46], v[5:6], -v[110:111]
	v_mul_f64 v[3:4], v[85:86], v[3:4]
	v_mul_f64 v[110:111], v[104:105], v[7:8]
	;; [unrolled: 1-line block ×3, first 2 shown]
	v_fma_f64 v[53:54], v[53:54], v[1:2], -v[114:115]
	v_fma_f64 v[55:56], v[55:56], v[1:2], v[116:117]
	v_fma_f64 v[81:82], v[81:82], v[1:2], -v[122:123]
	v_fma_f64 v[83:84], v[83:84], v[1:2], v[89:90]
	;; [unrolled: 2-line block ×3, first 2 shown]
	v_add_f64 v[1:2], v[9:10], v[73:74]
	v_fma_f64 v[104:105], v[104:105], v[5:6], v[7:8]
	v_add_f64 v[3:4], v[73:74], v[17:18]
	v_add_f64 v[7:8], v[75:76], v[19:20]
	v_fma_f64 v[47:48], v[47:48], v[5:6], v[112:113]
	v_fma_f64 v[65:66], v[65:66], v[5:6], -v[118:119]
	v_fma_f64 v[67:68], v[67:68], v[5:6], v[120:121]
	v_fma_f64 v[89:90], v[69:70], v[5:6], -v[124:125]
	;; [unrolled: 2-line block ×3, first 2 shown]
	v_add_f64 v[69:70], v[75:76], -v[19:20]
	v_add_f64 v[5:6], v[11:12], v[75:76]
	v_add_f64 v[73:74], v[73:74], -v[17:18]
	v_add_f64 v[106:107], v[25:26], v[21:22]
	v_add_f64 v[108:109], v[27:28], -v[23:24]
	v_add_f64 v[110:111], v[15:16], v[27:28]
	v_add_f64 v[27:28], v[27:28], v[23:24]
	v_add_f64 v[114:115], v[29:30], v[41:42]
	v_fma_f64 v[116:117], v[3:4], -0.5, v[9:10]
	v_add_f64 v[1:2], v[1:2], v[17:18]
	v_fma_f64 v[17:18], v[7:8], -0.5, v[11:12]
	v_add_f64 v[75:76], v[13:14], v[25:26]
	v_add_f64 v[25:26], v[25:26], -v[21:22]
	v_add_f64 v[112:113], v[33:34], v[29:30]
	v_add_f64 v[3:4], v[5:6], v[19:20]
	v_fma_f64 v[19:20], v[106:107], -0.5, v[13:14]
	v_add_f64 v[7:8], v[110:111], v[23:24]
	v_fma_f64 v[23:24], v[27:28], -0.5, v[15:16]
	v_fma_f64 v[9:10], v[69:70], s[2:3], v[116:117]
	v_fma_f64 v[13:14], v[69:70], s[4:5], v[116:117]
	;; [unrolled: 1-line block ×4, first 2 shown]
	v_add_f64 v[27:28], v[31:32], v[43:44]
	v_fma_f64 v[33:34], v[114:115], -0.5, v[33:34]
	v_add_f64 v[69:70], v[31:32], -v[43:44]
	v_add_f64 v[31:32], v[35:36], v[31:32]
	v_add_f64 v[73:74], v[49:50], v[45:46]
	;; [unrolled: 1-line block ×3, first 2 shown]
	v_fma_f64 v[17:18], v[108:109], s[2:3], v[19:20]
	v_fma_f64 v[21:22], v[108:109], s[4:5], v[19:20]
	;; [unrolled: 1-line block ×4, first 2 shown]
	v_add_f64 v[25:26], v[112:113], v[41:42]
	v_fma_f64 v[35:36], v[27:28], -0.5, v[35:36]
	v_add_f64 v[41:42], v[29:30], -v[41:42]
	v_fma_f64 v[29:30], v[69:70], s[2:3], v[33:34]
	v_fma_f64 v[33:34], v[69:70], s[4:5], v[33:34]
	v_add_f64 v[69:70], v[37:38], v[49:50]
	v_add_f64 v[27:28], v[31:32], v[43:44]
	;; [unrolled: 1-line block ×3, first 2 shown]
	v_fma_f64 v[73:74], v[73:74], -0.5, v[37:38]
	v_add_f64 v[75:76], v[51:52], -v[47:48]
	v_fma_f64 v[31:32], v[41:42], s[4:5], v[35:36]
	v_add_f64 v[51:52], v[39:40], v[51:52]
	v_fma_f64 v[35:36], v[41:42], s[2:3], v[35:36]
	v_add_f64 v[37:38], v[69:70], v[45:46]
	v_add_f64 v[69:70], v[53:54], v[65:66]
	v_fma_f64 v[106:107], v[43:44], -0.5, v[39:40]
	v_add_f64 v[49:50], v[49:50], -v[45:46]
	v_fma_f64 v[41:42], v[75:76], s[2:3], v[73:74]
	v_fma_f64 v[45:46], v[75:76], s[4:5], v[73:74]
	v_add_f64 v[73:74], v[57:58], v[53:54]
	v_add_f64 v[75:76], v[81:82], v[89:90]
	;; [unrolled: 1-line block ×4, first 2 shown]
	v_fma_f64 v[57:58], v[69:70], -0.5, v[57:58]
	v_add_f64 v[69:70], v[55:56], -v[67:68]
	v_fma_f64 v[43:44], v[49:50], s[4:5], v[106:107]
	v_fma_f64 v[47:48], v[49:50], s[2:3], v[106:107]
	v_add_f64 v[55:56], v[59:60], v[55:56]
	v_add_f64 v[106:107], v[53:54], -v[65:66]
	v_add_f64 v[49:50], v[73:74], v[65:66]
	v_add_f64 v[65:66], v[61:62], v[81:82]
	v_fma_f64 v[73:74], v[75:76], -0.5, v[61:62]
	v_add_f64 v[75:76], v[83:84], -v[71:72]
	v_fma_f64 v[59:60], v[51:52], -0.5, v[59:60]
	v_fma_f64 v[53:54], v[69:70], s[2:3], v[57:58]
	v_fma_f64 v[57:58], v[69:70], s[4:5], v[57:58]
	v_add_f64 v[51:52], v[55:56], v[67:68]
	v_add_f64 v[67:68], v[83:84], v[71:72]
	;; [unrolled: 1-line block ×3, first 2 shown]
	v_add_f64 v[81:82], v[81:82], -v[89:90]
	v_fma_f64 v[65:66], v[75:76], s[2:3], v[73:74]
	v_fma_f64 v[69:70], v[75:76], s[4:5], v[73:74]
	v_add_f64 v[73:74], v[87:88], v[104:105]
	v_fma_f64 v[55:56], v[106:107], s[4:5], v[59:60]
	v_fma_f64 v[59:60], v[106:107], s[2:3], v[59:60]
	v_add_f64 v[106:107], v[85:86], v[102:103]
	v_add_f64 v[75:76], v[63:64], v[83:84]
	v_fma_f64 v[83:84], v[67:68], -0.5, v[63:64]
	v_add_f64 v[89:90], v[77:78], v[85:86]
	v_add_f64 v[85:86], v[85:86], -v[102:103]
	v_fma_f64 v[110:111], v[73:74], -0.5, v[79:80]
	v_add_f64 v[108:109], v[87:88], -v[104:105]
	v_add_f64 v[87:88], v[79:80], v[87:88]
	v_fma_f64 v[106:107], v[106:107], -0.5, v[77:78]
	v_add_f64 v[63:64], v[75:76], v[71:72]
	v_fma_f64 v[67:68], v[81:82], s[4:5], v[83:84]
	v_fma_f64 v[71:72], v[81:82], s[2:3], v[83:84]
	v_add_f64 v[73:74], v[89:90], v[102:103]
	v_fma_f64 v[79:80], v[85:86], s[4:5], v[110:111]
	v_fma_f64 v[83:84], v[85:86], s[2:3], v[110:111]
	v_lshrrev_b32_e32 v85, 3, v92
	v_mul_u32_u24_e32 v85, 24, v85
	v_or_b32_e32 v85, v85, v0
	v_lshl_add_u32 v85, v85, 4, 0
	ds_write_b128 v85, v[1:4]
	ds_write_b128 v85, v[9:12] offset:128
	ds_write_b128 v85, v[13:16] offset:256
	v_lshrrev_b32_e32 v1, 3, v97
	v_mul_u32_u24_e32 v1, 24, v1
	v_or_b32_e32 v1, v1, v0
	v_lshl_add_u32 v1, v1, 4, 0
	ds_write_b128 v1, v[5:8]
	ds_write_b128 v1, v[17:20] offset:128
	ds_write_b128 v1, v[21:24] offset:256
	;; [unrolled: 7-line block ×4, first 2 shown]
	v_lshrrev_b32_e32 v1, 3, v99
	v_mul_u32_u24_e32 v1, 24, v1
	v_or_b32_e32 v1, v1, v0
	v_lshl_add_u32 v1, v1, 4, 0
	v_add_f64 v[75:76], v[87:88], v[104:105]
	ds_write_b128 v1, v[49:52]
	ds_write_b128 v1, v[53:56] offset:128
	ds_write_b128 v1, v[57:60] offset:256
	v_lshrrev_b32_e32 v1, 3, v100
	v_fma_f64 v[77:78], v[108:109], s[2:3], v[106:107]
	v_mul_u32_u24_e32 v1, 24, v1
	v_fma_f64 v[81:82], v[108:109], s[4:5], v[106:107]
	v_or_b32_e32 v1, v1, v0
	v_lshl_add_u32 v1, v1, 4, 0
	ds_write_b128 v1, v[61:64]
	ds_write_b128 v1, v[65:68] offset:128
	ds_write_b128 v1, v[69:72] offset:256
	v_lshrrev_b32_e32 v1, 3, v101
	v_mul_u32_u24_e32 v1, 24, v1
	v_or_b32_e32 v0, v1, v0
	v_lshl_add_u32 v0, v0, 4, 0
	s_movk_i32 s2, 0xab
	ds_write_b128 v0, v[73:76]
	ds_write_b128 v0, v[77:80] offset:128
	ds_write_b128 v0, v[81:84] offset:256
	v_mul_lo_u16_sdwa v0, v92, s2 dst_sel:DWORD dst_unused:UNUSED_PAD src0_sel:BYTE_0 src1_sel:DWORD
	v_lshrrev_b16_e32 v4, 12, v0
	v_mul_lo_u16_e32 v0, 24, v4
	v_sub_u16_e32 v5, v92, v0
	v_mov_b32_e32 v70, 6
	v_mul_u32_u24_sdwa v0, v5, v70 dst_sel:DWORD dst_unused:UNUSED_PAD src0_sel:BYTE_0 src1_sel:DWORD
	v_lshlrev_b32_e32 v0, 4, v0
	s_waitcnt lgkmcnt(0)
	; wave barrier
	s_waitcnt lgkmcnt(0)
	global_load_dwordx4 v[10:13], v0, s[8:9] offset:352
	global_load_dwordx4 v[14:17], v0, s[8:9] offset:368
	global_load_dwordx4 v[18:21], v0, s[8:9] offset:384
	global_load_dwordx4 v[22:25], v0, s[8:9] offset:400
	global_load_dwordx4 v[26:29], v0, s[8:9] offset:416
	global_load_dwordx4 v[30:33], v0, s[8:9] offset:432
	v_mul_lo_u16_sdwa v0, v97, s2 dst_sel:DWORD dst_unused:UNUSED_PAD src0_sel:BYTE_0 src1_sel:DWORD
	v_lshrrev_b16_e32 v6, 12, v0
	v_mul_lo_u16_e32 v0, 24, v6
	v_sub_u16_e32 v7, v97, v0
	v_mul_u32_u24_sdwa v0, v7, v70 dst_sel:DWORD dst_unused:UNUSED_PAD src0_sel:BYTE_0 src1_sel:DWORD
	v_lshlrev_b32_e32 v0, 4, v0
	global_load_dwordx4 v[34:37], v0, s[8:9] offset:352
	global_load_dwordx4 v[38:41], v0, s[8:9] offset:368
	;; [unrolled: 1-line block ×4, first 2 shown]
	ds_read_b128 v[50:53], v96 offset:2688
	ds_read_b128 v[54:57], v96 offset:5376
	;; [unrolled: 1-line block ×3, first 2 shown]
	global_load_dwordx4 v[62:65], v0, s[8:9] offset:432
	global_load_dwordx4 v[66:69], v0, s[8:9] offset:416
	v_mul_lo_u16_sdwa v8, v93, s2 dst_sel:DWORD dst_unused:UNUSED_PAD src0_sel:BYTE_0 src1_sel:DWORD
	v_lshrrev_b16_e32 v8, 12, v8
	v_mul_lo_u16_e32 v9, 24, v8
	v_sub_u16_e32 v9, v93, v9
	v_mul_u32_u24_sdwa v70, v9, v70 dst_sel:DWORD dst_unused:UNUSED_PAD src0_sel:BYTE_0 src1_sel:DWORD
	v_lshlrev_b32_e32 v93, 4, v70
	ds_read_b128 v[0:3], v96 offset:1792
	global_load_dwordx4 v[70:73], v93, s[8:9] offset:368
	global_load_dwordx4 v[74:77], v93, s[8:9] offset:352
	ds_read_b128 v[78:81], v96 offset:10752
	ds_read_b128 v[82:85], v96 offset:11648
	;; [unrolled: 1-line block ×4, first 2 shown]
	s_mov_b32 s4, 0x37e14327
	s_mov_b32 s2, 0x36b3c0b5
	;; [unrolled: 1-line block ×4, first 2 shown]
	v_mul_u32_u24_e32 v4, 0xa80, v4
	s_waitcnt vmcnt(13) lgkmcnt(7)
	v_mul_f64 v[90:91], v[52:53], v[12:13]
	v_mul_f64 v[12:13], v[50:51], v[12:13]
	s_waitcnt vmcnt(12) lgkmcnt(6)
	v_mul_f64 v[101:102], v[56:57], v[16:17]
	v_mul_f64 v[16:17], v[54:55], v[16:17]
	;; [unrolled: 3-line block ×3, first 2 shown]
	s_waitcnt vmcnt(10)
	v_mul_f64 v[117:118], v[80:81], v[24:25]
	v_mul_f64 v[24:25], v[78:79], v[24:25]
	v_fma_f64 v[90:91], v[50:51], v[10:11], -v[90:91]
	v_fma_f64 v[109:110], v[52:53], v[10:11], v[12:13]
	v_fma_f64 v[111:112], v[54:55], v[14:15], -v[101:102]
	v_fma_f64 v[113:114], v[56:57], v[14:15], v[16:17]
	global_load_dwordx4 v[10:13], v93, s[8:9] offset:400
	global_load_dwordx4 v[14:17], v93, s[8:9] offset:384
	global_load_dwordx4 v[50:53], v93, s[8:9] offset:432
	global_load_dwordx4 v[54:57], v93, s[8:9] offset:416
	ds_read_b128 v[101:104], v96 offset:13440
	ds_read_b128 v[105:108], v96 offset:12544
	v_fma_f64 v[86:87], v[86:87], v[18:19], -v[115:116]
	v_fma_f64 v[88:89], v[88:89], v[18:19], v[20:21]
	ds_read_b128 v[18:21], v96 offset:16128
	s_waitcnt vmcnt(13) lgkmcnt(2)
	v_mul_f64 v[115:116], v[103:104], v[28:29]
	v_mul_f64 v[28:29], v[101:102], v[28:29]
	v_fma_f64 v[117:118], v[78:79], v[22:23], -v[117:118]
	v_fma_f64 v[119:120], v[80:81], v[22:23], v[24:25]
	ds_read_b128 v[22:25], v96 offset:17024
	s_waitcnt vmcnt(12) lgkmcnt(1)
	v_mul_f64 v[121:122], v[20:21], v[32:33]
	v_mul_f64 v[32:33], v[18:19], v[32:33]
	v_fma_f64 v[101:102], v[101:102], v[26:27], -v[115:116]
	v_fma_f64 v[103:104], v[103:104], v[26:27], v[28:29]
	ds_read_b128 v[26:29], v96 offset:3584
	ds_read_b128 v[78:81], v96 offset:4480
	v_fma_f64 v[115:116], v[18:19], v[30:31], -v[121:122]
	v_fma_f64 v[121:122], v[20:21], v[30:31], v[32:33]
	s_waitcnt vmcnt(11) lgkmcnt(1)
	v_mul_f64 v[18:19], v[28:29], v[36:37]
	v_mul_f64 v[20:21], v[26:27], v[36:37]
	s_waitcnt vmcnt(10)
	v_mul_f64 v[30:31], v[60:61], v[40:41]
	v_mul_f64 v[32:33], v[58:59], v[40:41]
	s_waitcnt vmcnt(8)
	v_mul_f64 v[36:37], v[82:83], v[48:49]
	v_fma_f64 v[40:41], v[26:27], v[34:35], -v[18:19]
	v_fma_f64 v[123:124], v[28:29], v[34:35], v[20:21]
	ds_read_b128 v[18:21], v96 offset:8960
	ds_read_b128 v[26:29], v96 offset:9856
	v_fma_f64 v[58:59], v[58:59], v[38:39], -v[30:31]
	v_fma_f64 v[60:61], v[60:61], v[38:39], v[32:33]
	v_mul_f64 v[34:35], v[84:85], v[48:49]
	s_waitcnt lgkmcnt(1)
	v_mul_f64 v[30:31], v[20:21], v[44:45]
	v_mul_f64 v[32:33], v[18:19], v[44:45]
	s_waitcnt vmcnt(5)
	v_mul_f64 v[38:39], v[99:100], v[72:73]
	v_fma_f64 v[48:49], v[82:83], v[46:47], -v[34:35]
	v_fma_f64 v[44:45], v[18:19], v[42:43], -v[30:31]
	v_fma_f64 v[42:43], v[20:21], v[42:43], v[32:33]
	ds_read_b128 v[18:21], v96 offset:14336
	ds_read_b128 v[30:33], v96 offset:15232
	v_fma_f64 v[46:47], v[84:85], v[46:47], v[36:37]
	s_waitcnt lgkmcnt(1)
	v_mul_f64 v[34:35], v[20:21], v[68:69]
	v_mul_f64 v[36:37], v[18:19], v[68:69]
	v_fma_f64 v[68:69], v[18:19], v[66:67], -v[34:35]
	v_fma_f64 v[66:67], v[20:21], v[66:67], v[36:37]
	v_mul_f64 v[18:19], v[24:25], v[64:65]
	v_mul_f64 v[20:21], v[22:23], v[64:65]
	s_waitcnt vmcnt(4)
	v_mul_f64 v[34:35], v[80:81], v[76:77]
	v_mul_f64 v[36:37], v[78:79], v[76:77]
	;; [unrolled: 1-line block ×3, first 2 shown]
	v_fma_f64 v[72:73], v[22:23], v[62:63], -v[18:19]
	v_fma_f64 v[62:63], v[24:25], v[62:63], v[20:21]
	v_fma_f64 v[76:77], v[78:79], v[74:75], -v[34:35]
	v_fma_f64 v[74:75], v[80:81], v[74:75], v[36:37]
	;; [unrolled: 2-line block ×3, first 2 shown]
	s_waitcnt vmcnt(3)
	v_mul_f64 v[70:71], v[107:108], v[12:13]
	v_mul_f64 v[12:13], v[105:106], v[12:13]
	s_waitcnt vmcnt(0) lgkmcnt(0)
	v_mul_f64 v[80:81], v[32:33], v[56:57]
	v_mul_f64 v[56:57], v[30:31], v[56:57]
	v_mul_f64 v[24:25], v[28:29], v[16:17]
	v_mul_f64 v[38:39], v[26:27], v[16:17]
	ds_read_b128 v[16:19], v96
	ds_read_b128 v[20:23], v96 offset:896
	ds_read_b128 v[34:37], v96 offset:17920
	s_waitcnt lgkmcnt(0)
	v_fma_f64 v[70:71], v[105:106], v[10:11], -v[70:71]
	v_fma_f64 v[97:98], v[107:108], v[10:11], v[12:13]
	v_fma_f64 v[80:81], v[30:31], v[54:55], -v[80:81]
	v_fma_f64 v[99:100], v[32:33], v[54:55], v[56:57]
	v_add_f64 v[10:11], v[90:91], v[115:116]
	v_add_f64 v[12:13], v[109:110], v[121:122]
	;; [unrolled: 1-line block ×4, first 2 shown]
	v_fma_f64 v[82:83], v[26:27], v[14:15], -v[24:25]
	v_fma_f64 v[84:85], v[28:29], v[14:15], v[38:39]
	v_mul_f64 v[14:15], v[36:37], v[52:53]
	v_mul_f64 v[24:25], v[34:35], v[52:53]
	v_add_f64 v[26:27], v[90:91], -v[115:116]
	v_add_f64 v[28:29], v[109:110], -v[121:122]
	;; [unrolled: 1-line block ×4, first 2 shown]
	v_add_f64 v[54:55], v[86:87], v[117:118]
	v_add_f64 v[56:57], v[88:89], v[119:120]
	v_add_f64 v[86:87], v[117:118], -v[86:87]
	v_add_f64 v[88:89], v[119:120], -v[88:89]
	v_add_f64 v[90:91], v[30:31], v[10:11]
	v_add_f64 v[101:102], v[32:33], v[12:13]
	v_add_f64 v[103:104], v[30:31], -v[10:11]
	v_add_f64 v[105:106], v[32:33], -v[12:13]
	;; [unrolled: 1-line block ×6, first 2 shown]
	v_add_f64 v[10:11], v[86:87], v[38:39]
	v_add_f64 v[12:13], v[88:89], v[52:53]
	v_add_f64 v[111:112], v[86:87], -v[38:39]
	v_add_f64 v[113:114], v[88:89], -v[52:53]
	v_add_f64 v[54:55], v[54:55], v[90:91]
	v_add_f64 v[56:57], v[56:57], v[101:102]
	v_add_f64 v[38:39], v[38:39], -v[26:27]
	v_add_f64 v[52:53], v[52:53], -v[28:29]
	v_add_f64 v[86:87], v[26:27], -v[86:87]
	v_add_f64 v[88:89], v[28:29], -v[88:89]
	v_add_f64 v[26:27], v[10:11], v[26:27]
	v_add_f64 v[28:29], v[12:13], v[28:29]
	;; [unrolled: 1-line block ×4, first 2 shown]
	v_mul_f64 v[16:17], v[107:108], s[4:5]
	v_mul_f64 v[18:19], v[109:110], s[4:5]
	;; [unrolled: 1-line block ×8, first 2 shown]
	v_fma_f64 v[54:55], v[54:55], s[14:15], v[10:11]
	v_fma_f64 v[56:57], v[56:57], s[14:15], v[12:13]
	;; [unrolled: 1-line block ×4, first 2 shown]
	v_fma_f64 v[90:91], v[103:104], s[16:17], -v[90:91]
	v_fma_f64 v[101:102], v[105:106], s[16:17], -v[101:102]
	;; [unrolled: 1-line block ×4, first 2 shown]
	v_fma_f64 v[103:104], v[86:87], s[20:21], v[107:108]
	v_fma_f64 v[105:106], v[88:89], s[20:21], v[109:110]
	v_fma_f64 v[38:39], v[38:39], s[6:7], -v[107:108]
	v_fma_f64 v[52:53], v[52:53], s[6:7], -v[109:110]
	;; [unrolled: 1-line block ×4, first 2 shown]
	v_add_f64 v[107:108], v[30:31], v[54:55]
	v_add_f64 v[109:110], v[32:33], v[56:57]
	;; [unrolled: 1-line block ×6, first 2 shown]
	v_fma_f64 v[86:87], v[26:27], s[22:23], v[86:87]
	v_fma_f64 v[88:89], v[28:29], s[22:23], v[88:89]
	;; [unrolled: 1-line block ×6, first 2 shown]
	v_fma_f64 v[103:104], v[34:35], v[50:51], -v[14:15]
	v_fma_f64 v[105:106], v[36:37], v[50:51], v[24:25]
	v_add_f64 v[26:27], v[18:19], -v[86:87]
	v_add_f64 v[24:25], v[88:89], v[54:55]
	v_add_f64 v[28:29], v[32:33], -v[52:53]
	v_add_f64 v[30:31], v[38:39], v[90:91]
	v_add_f64 v[32:33], v[52:53], v[32:33]
	v_add_f64 v[34:35], v[90:91], -v[38:39]
	v_add_f64 v[36:37], v[54:55], -v[88:89]
	v_add_f64 v[38:39], v[86:87], v[18:19]
	v_add_f64 v[18:19], v[40:41], v[72:73]
	;; [unrolled: 1-line block ×3, first 2 shown]
	v_add_f64 v[52:53], v[123:124], -v[62:63]
	v_add_f64 v[54:55], v[58:59], v[68:69]
	v_add_f64 v[62:63], v[60:61], v[66:67]
	v_add_f64 v[40:41], v[40:41], -v[72:73]
	v_add_f64 v[58:59], v[58:59], -v[68:69]
	;; [unrolled: 1-line block ×3, first 2 shown]
	v_add_f64 v[66:67], v[44:45], v[48:49]
	v_add_f64 v[68:69], v[42:43], v[46:47]
	v_add_f64 v[44:45], v[48:49], -v[44:45]
	v_add_f64 v[42:43], v[46:47], -v[42:43]
	v_add_f64 v[46:47], v[54:55], v[18:19]
	v_add_f64 v[48:49], v[62:63], v[50:51]
	v_add_f64 v[72:73], v[54:55], -v[18:19]
	v_add_f64 v[86:87], v[62:63], -v[50:51]
	;; [unrolled: 1-line block ×6, first 2 shown]
	v_add_f64 v[18:19], v[44:45], v[58:59]
	v_add_f64 v[90:91], v[42:43], v[60:61]
	v_add_f64 v[111:112], v[44:45], -v[58:59]
	v_add_f64 v[113:114], v[42:43], -v[60:61]
	v_add_f64 v[46:47], v[66:67], v[46:47]
	v_add_f64 v[48:49], v[68:69], v[48:49]
	v_add_f64 v[58:59], v[58:59], -v[40:41]
	v_add_f64 v[60:61], v[60:61], -v[52:53]
	;; [unrolled: 1-line block ×4, first 2 shown]
	v_add_f64 v[40:41], v[18:19], v[40:41]
	v_add_f64 v[52:53], v[90:91], v[52:53]
	;; [unrolled: 1-line block ×4, first 2 shown]
	v_mul_f64 v[22:23], v[88:89], s[4:5]
	v_mul_f64 v[50:51], v[50:51], s[4:5]
	;; [unrolled: 1-line block ×8, first 2 shown]
	v_fma_f64 v[46:47], v[46:47], s[14:15], v[18:19]
	v_fma_f64 v[48:49], v[48:49], s[14:15], v[20:21]
	;; [unrolled: 1-line block ×4, first 2 shown]
	v_fma_f64 v[66:67], v[72:73], s[16:17], -v[66:67]
	v_fma_f64 v[68:69], v[86:87], s[16:17], -v[68:69]
	;; [unrolled: 1-line block ×4, first 2 shown]
	v_fma_f64 v[72:73], v[44:45], s[20:21], v[88:89]
	v_fma_f64 v[86:87], v[42:43], s[20:21], v[90:91]
	v_fma_f64 v[58:59], v[58:59], s[6:7], -v[88:89]
	v_fma_f64 v[60:61], v[60:61], s[6:7], -v[90:91]
	;; [unrolled: 1-line block ×4, first 2 shown]
	v_add_f64 v[90:91], v[62:63], v[48:49]
	v_add_f64 v[62:63], v[66:67], v[46:47]
	;; [unrolled: 1-line block ×5, first 2 shown]
	v_fma_f64 v[60:61], v[52:53], s[22:23], v[60:61]
	v_fma_f64 v[113:114], v[40:41], s[22:23], v[44:45]
	;; [unrolled: 1-line block ×4, first 2 shown]
	v_add_f64 v[14:15], v[56:57], v[107:108]
	v_add_f64 v[16:17], v[109:110], -v[101:102]
	v_add_f64 v[88:89], v[54:55], v[46:47]
	v_fma_f64 v[86:87], v[52:53], s[22:23], v[86:87]
	v_fma_f64 v[72:73], v[40:41], s[22:23], v[72:73]
	v_add_f64 v[40:41], v[107:108], -v[56:57]
	v_add_f64 v[42:43], v[101:102], v[109:110]
	v_add_f64 v[48:49], v[111:112], v[22:23]
	v_add_f64 v[50:51], v[68:69], -v[113:114]
	v_add_f64 v[52:53], v[62:63], -v[60:61]
	v_add_f64 v[54:55], v[58:59], v[66:67]
	v_add_f64 v[56:57], v[60:61], v[62:63]
	v_add_f64 v[58:59], v[66:67], -v[58:59]
	v_add_f64 v[60:61], v[22:23], -v[111:112]
	v_add_f64 v[62:63], v[113:114], v[68:69]
	v_add_f64 v[22:23], v[76:77], v[103:104]
	v_add_f64 v[66:67], v[74:75], v[105:106]
	v_add_f64 v[68:69], v[76:77], -v[103:104]
	v_add_f64 v[76:77], v[78:79], v[80:81]
	v_add_f64 v[101:102], v[64:65], v[99:100]
	v_add_f64 v[74:75], v[74:75], -v[105:106]
	v_add_f64 v[78:79], v[78:79], -v[80:81]
	;; [unrolled: 1-line block ×3, first 2 shown]
	v_add_f64 v[80:81], v[82:83], v[70:71]
	v_add_f64 v[99:100], v[84:85], v[97:98]
	v_add_f64 v[70:71], v[70:71], -v[82:83]
	v_add_f64 v[82:83], v[97:98], -v[84:85]
	v_add_f64 v[84:85], v[76:77], v[22:23]
	v_add_f64 v[97:98], v[101:102], v[66:67]
	v_add_f64 v[103:104], v[76:77], -v[22:23]
	v_add_f64 v[105:106], v[101:102], -v[66:67]
	;; [unrolled: 1-line block ×6, first 2 shown]
	v_add_f64 v[107:108], v[70:71], v[78:79]
	v_add_f64 v[109:110], v[82:83], v[64:65]
	v_add_f64 v[111:112], v[70:71], -v[78:79]
	v_add_f64 v[113:114], v[82:83], -v[64:65]
	v_add_f64 v[80:81], v[80:81], v[84:85]
	v_add_f64 v[84:85], v[99:100], v[97:98]
	v_add_f64 v[64:65], v[64:65], -v[74:75]
	v_add_f64 v[78:79], v[78:79], -v[68:69]
	;; [unrolled: 1-line block ×4, first 2 shown]
	v_add_f64 v[68:69], v[107:108], v[68:69]
	v_add_f64 v[74:75], v[109:110], v[74:75]
	;; [unrolled: 1-line block ×4, first 2 shown]
	v_mul_f64 v[22:23], v[22:23], s[4:5]
	v_mul_f64 v[66:67], v[66:67], s[4:5]
	;; [unrolled: 1-line block ×8, first 2 shown]
	v_fma_f64 v[80:81], v[80:81], s[14:15], v[0:1]
	v_fma_f64 v[84:85], v[84:85], s[14:15], v[2:3]
	;; [unrolled: 1-line block ×4, first 2 shown]
	v_fma_f64 v[97:98], v[103:104], s[16:17], -v[97:98]
	v_fma_f64 v[99:100], v[105:106], s[16:17], -v[99:100]
	v_fma_f64 v[22:23], v[103:104], s[18:19], -v[22:23]
	v_fma_f64 v[66:67], v[105:106], s[18:19], -v[66:67]
	v_fma_f64 v[103:104], v[70:71], s[20:21], v[107:108]
	v_fma_f64 v[105:106], v[82:83], s[20:21], v[109:110]
	v_fma_f64 v[82:83], v[82:83], s[24:25], -v[113:114]
	v_fma_f64 v[70:71], v[70:71], s[24:25], -v[111:112]
	;; [unrolled: 1-line block ×4, first 2 shown]
	v_add_f64 v[107:108], v[76:77], v[80:81]
	v_add_f64 v[101:102], v[101:102], v[84:85]
	;; [unrolled: 1-line block ×5, first 2 shown]
	v_fma_f64 v[105:106], v[74:75], s[22:23], v[105:106]
	v_fma_f64 v[103:104], v[68:69], s[22:23], v[103:104]
	;; [unrolled: 1-line block ×4, first 2 shown]
	v_add_f64 v[97:98], v[97:98], v[80:81]
	v_fma_f64 v[80:81], v[74:75], s[22:23], v[64:65]
	v_fma_f64 v[82:83], v[68:69], s[22:23], v[78:79]
	v_add_f64 v[44:45], v[86:87], v[88:89]
	v_add_f64 v[46:47], v[90:91], -v[72:73]
	v_add_f64 v[66:67], v[72:73], v[90:91]
	v_add_f64 v[68:69], v[105:106], v[107:108]
	v_add_f64 v[70:71], v[101:102], -v[103:104]
	v_add_f64 v[72:73], v[84:85], v[22:23]
	v_add_f64 v[84:85], v[22:23], -v[84:85]
	v_mov_b32_e32 v22, 4
	v_add_f64 v[74:75], v[109:110], -v[111:112]
	v_lshlrev_b32_sdwa v5, v22, v5 dst_sel:DWORD dst_unused:UNUSED_PAD src0_sel:DWORD src1_sel:BYTE_0
	v_add_f64 v[76:77], v[97:98], -v[80:81]
	v_add_f64 v[78:79], v[82:83], v[99:100]
	v_add3_u32 v4, 0, v4, v5
	v_add_f64 v[64:65], v[88:89], -v[86:87]
	v_add_f64 v[80:81], v[80:81], v[97:98]
	v_add_f64 v[82:83], v[99:100], -v[82:83]
	; wave barrier
	ds_write_b128 v4, v[10:13]
	ds_write_b128 v4, v[14:17] offset:384
	ds_write_b128 v4, v[24:27] offset:768
	;; [unrolled: 1-line block ×6, first 2 shown]
	v_mul_u32_u24_e32 v4, 0xa80, v6
	v_lshlrev_b32_sdwa v5, v22, v7 dst_sel:DWORD dst_unused:UNUSED_PAD src0_sel:DWORD src1_sel:BYTE_0
	v_add_f64 v[86:87], v[111:112], v[109:110]
	v_add3_u32 v4, 0, v4, v5
	v_add_f64 v[88:89], v[107:108], -v[105:106]
	v_add_f64 v[90:91], v[103:104], v[101:102]
	ds_write_b128 v4, v[18:21]
	ds_write_b128 v4, v[44:47] offset:384
	ds_write_b128 v4, v[48:51] offset:768
	;; [unrolled: 1-line block ×6, first 2 shown]
	v_mul_u32_u24_e32 v4, 0xa80, v8
	v_lshlrev_b32_sdwa v5, v22, v9 dst_sel:DWORD dst_unused:UNUSED_PAD src0_sel:DWORD src1_sel:BYTE_0
	v_add3_u32 v4, 0, v4, v5
	ds_write_b128 v4, v[0:3]
	ds_write_b128 v4, v[68:71] offset:384
	ds_write_b128 v4, v[72:75] offset:768
	;; [unrolled: 1-line block ×6, first 2 shown]
	v_mul_u32_u24_e32 v0, 6, v92
	v_lshlrev_b32_e32 v24, 4, v0
	s_waitcnt lgkmcnt(0)
	; wave barrier
	s_waitcnt lgkmcnt(0)
	global_load_dwordx4 v[0:3], v24, s[8:9] offset:2656
	global_load_dwordx4 v[4:7], v24, s[8:9] offset:2672
	;; [unrolled: 1-line block ×6, first 2 shown]
	v_mov_b32_e32 v25, s9
	v_add_co_u32_e32 v50, vcc, s8, v24
	v_addc_co_u32_e32 v51, vcc, 0, v25, vcc
	s_movk_i32 s8, 0x1500
	v_add_co_u32_e32 v48, vcc, s8, v50
	v_addc_co_u32_e32 v49, vcc, 0, v51, vcc
	global_load_dwordx4 v[24:27], v[48:49], off offset:2656
	global_load_dwordx4 v[28:31], v[48:49], off offset:2672
	;; [unrolled: 1-line block ×6, first 2 shown]
	s_movk_i32 s8, 0x2a00
	v_add_co_u32_e32 v101, vcc, s8, v50
	v_addc_co_u32_e32 v102, vcc, 0, v51, vcc
	global_load_dwordx4 v[48:51], v[101:102], off offset:2656
	global_load_dwordx4 v[52:55], v[101:102], off offset:2672
	ds_read_b128 v[56:59], v96 offset:2688
	ds_read_b128 v[60:63], v96 offset:5376
	;; [unrolled: 1-line block ×5, first 2 shown]
	global_load_dwordx4 v[76:79], v[101:102], off offset:2704
	global_load_dwordx4 v[80:83], v[101:102], off offset:2688
	ds_read_b128 v[84:87], v96 offset:1792
	global_load_dwordx4 v[88:91], v[101:102], off offset:2736
	global_load_dwordx4 v[97:100], v[101:102], off offset:2720
	ds_read_b128 v[101:104], v96 offset:16128
	ds_read_b128 v[105:108], v96 offset:17024
	;; [unrolled: 1-line block ×4, first 2 shown]
	s_waitcnt vmcnt(17) lgkmcnt(9)
	v_mul_f64 v[117:118], v[58:59], v[2:3]
	v_mul_f64 v[2:3], v[56:57], v[2:3]
	s_waitcnt vmcnt(16) lgkmcnt(8)
	v_mul_f64 v[119:120], v[62:63], v[6:7]
	v_mul_f64 v[6:7], v[60:61], v[6:7]
	;; [unrolled: 3-line block ×3, first 2 shown]
	v_fma_f64 v[56:57], v[56:57], v[0:1], -v[117:118]
	s_waitcnt lgkmcnt(1)
	v_mul_f64 v[117:118], v[111:112], v[10:11]
	v_fma_f64 v[58:59], v[58:59], v[0:1], v[2:3]
	v_mul_f64 v[10:11], v[109:110], v[10:11]
	v_fma_f64 v[60:61], v[60:61], v[4:5], -v[119:120]
	v_fma_f64 v[62:63], v[62:63], v[4:5], v[6:7]
	ds_read_b128 v[0:3], v96 offset:13440
	ds_read_b128 v[4:7], v96 offset:12544
	v_fma_f64 v[68:69], v[68:69], v[12:13], -v[121:122]
	v_fma_f64 v[70:71], v[70:71], v[12:13], v[14:15]
	v_fma_f64 v[109:110], v[109:110], v[8:9], -v[117:118]
	s_waitcnt vmcnt(12) lgkmcnt(1)
	v_mul_f64 v[117:118], v[2:3], v[22:23]
	v_mul_f64 v[22:23], v[0:1], v[22:23]
	v_fma_f64 v[111:112], v[111:112], v[8:9], v[10:11]
	v_mul_f64 v[119:120], v[103:104], v[18:19]
	v_mul_f64 v[18:19], v[101:102], v[18:19]
	ds_read_b128 v[8:11], v96 offset:3584
	ds_read_b128 v[12:15], v96 offset:4480
	v_fma_f64 v[117:118], v[0:1], v[20:21], -v[117:118]
	v_fma_f64 v[121:122], v[2:3], v[20:21], v[22:23]
	s_waitcnt vmcnt(11) lgkmcnt(1)
	v_mul_f64 v[20:21], v[10:11], v[26:27]
	v_mul_f64 v[22:23], v[8:9], v[26:27]
	v_fma_f64 v[101:102], v[101:102], v[16:17], -v[119:120]
	v_fma_f64 v[103:104], v[103:104], v[16:17], v[18:19]
	ds_read_b128 v[0:3], v96 offset:8960
	ds_read_b128 v[16:19], v96 offset:9856
	s_waitcnt vmcnt(10)
	v_mul_f64 v[26:27], v[66:67], v[30:31]
	v_mul_f64 v[30:31], v[64:65], v[30:31]
	v_fma_f64 v[119:120], v[8:9], v[24:25], -v[20:21]
	v_fma_f64 v[123:124], v[10:11], v[24:25], v[22:23]
	s_waitcnt vmcnt(9) lgkmcnt(1)
	v_mul_f64 v[24:25], v[2:3], v[34:35]
	v_mul_f64 v[34:35], v[0:1], v[34:35]
	ds_read_b128 v[8:11], v96 offset:14336
	ds_read_b128 v[20:23], v96 offset:15232
	v_fma_f64 v[64:65], v[64:65], v[28:29], -v[26:27]
	v_fma_f64 v[28:29], v[66:67], v[28:29], v[30:31]
	s_waitcnt vmcnt(5)
	v_mul_f64 v[66:67], v[14:15], v[50:51]
	v_mul_f64 v[50:51], v[12:13], v[50:51]
	s_waitcnt lgkmcnt(1)
	v_mul_f64 v[26:27], v[8:9], v[42:43]
	v_fma_f64 v[30:31], v[0:1], v[32:33], -v[24:25]
	v_fma_f64 v[32:33], v[2:3], v[32:33], v[34:35]
	v_mul_f64 v[0:1], v[74:75], v[38:39]
	v_mul_f64 v[2:3], v[72:73], v[38:39]
	;; [unrolled: 1-line block ×5, first 2 shown]
	v_fma_f64 v[66:67], v[12:13], v[48:49], -v[66:67]
	s_waitcnt vmcnt(4)
	v_mul_f64 v[12:13], v[115:116], v[54:55]
	v_fma_f64 v[34:35], v[72:73], v[36:37], -v[0:1]
	v_fma_f64 v[36:37], v[74:75], v[36:37], v[2:3]
	v_fma_f64 v[72:73], v[14:15], v[48:49], v[50:51]
	v_mul_f64 v[14:15], v[113:114], v[54:55]
	s_waitcnt vmcnt(3)
	v_mul_f64 v[50:51], v[6:7], v[78:79]
	v_mul_f64 v[54:55], v[4:5], v[78:79]
	s_waitcnt vmcnt(0) lgkmcnt(0)
	v_mul_f64 v[74:75], v[22:23], v[99:100]
	v_mul_f64 v[78:79], v[20:21], v[99:100]
	v_fma_f64 v[42:43], v[105:106], v[44:45], -v[42:43]
	v_fma_f64 v[44:45], v[107:108], v[44:45], v[46:47]
	v_mul_f64 v[46:47], v[18:19], v[82:83]
	v_mul_f64 v[48:49], v[16:17], v[82:83]
	v_fma_f64 v[82:83], v[113:114], v[52:53], -v[12:13]
	v_fma_f64 v[52:53], v[115:116], v[52:53], v[14:15]
	v_fma_f64 v[105:106], v[4:5], v[76:77], -v[50:51]
	v_fma_f64 v[54:55], v[6:7], v[76:77], v[54:55]
	;; [unrolled: 2-line block ×3, first 2 shown]
	v_add_f64 v[12:13], v[56:57], v[101:102]
	v_add_f64 v[14:15], v[58:59], v[103:104]
	;; [unrolled: 1-line block ×4, first 2 shown]
	v_fma_f64 v[99:100], v[16:17], v[80:81], -v[46:47]
	v_fma_f64 v[80:81], v[18:19], v[80:81], v[48:49]
	v_add_f64 v[16:17], v[56:57], -v[101:102]
	v_add_f64 v[18:19], v[58:59], -v[103:104]
	;; [unrolled: 1-line block ×4, first 2 shown]
	v_add_f64 v[50:51], v[109:110], v[68:69]
	v_add_f64 v[56:57], v[111:112], v[70:71]
	v_add_f64 v[58:59], v[68:69], -v[109:110]
	v_add_f64 v[60:61], v[70:71], -v[111:112]
	v_add_f64 v[62:63], v[20:21], v[12:13]
	v_add_f64 v[68:69], v[22:23], v[14:15]
	v_fma_f64 v[38:39], v[8:9], v[40:41], -v[24:25]
	v_fma_f64 v[40:41], v[10:11], v[40:41], v[26:27]
	ds_read_b128 v[0:3], v96
	ds_read_b128 v[8:11], v96 offset:896
	ds_read_b128 v[24:27], v96 offset:17920
	v_add_f64 v[70:71], v[20:21], -v[12:13]
	v_add_f64 v[78:79], v[22:23], -v[14:15]
	;; [unrolled: 1-line block ×4, first 2 shown]
	s_waitcnt lgkmcnt(0)
	v_mul_f64 v[4:5], v[26:27], v[90:91]
	v_mul_f64 v[6:7], v[24:25], v[90:91]
	v_add_f64 v[20:21], v[50:51], -v[20:21]
	v_add_f64 v[22:23], v[56:57], -v[22:23]
	v_add_f64 v[90:91], v[58:59], v[46:47]
	v_add_f64 v[97:98], v[60:61], v[48:49]
	v_add_f64 v[101:102], v[58:59], -v[46:47]
	v_add_f64 v[103:104], v[60:61], -v[48:49]
	v_add_f64 v[50:51], v[50:51], v[62:63]
	v_add_f64 v[56:57], v[56:57], v[68:69]
	v_add_f64 v[46:47], v[46:47], -v[16:17]
	v_add_f64 v[48:49], v[48:49], -v[18:19]
	;; [unrolled: 1-line block ×4, first 2 shown]
	v_add_f64 v[16:17], v[90:91], v[16:17]
	v_add_f64 v[18:19], v[97:98], v[18:19]
	;; [unrolled: 1-line block ×4, first 2 shown]
	v_mul_f64 v[12:13], v[12:13], s[4:5]
	v_mul_f64 v[14:15], v[14:15], s[4:5]
	;; [unrolled: 1-line block ×8, first 2 shown]
	v_fma_f64 v[50:51], v[50:51], s[14:15], v[0:1]
	v_fma_f64 v[56:57], v[56:57], s[14:15], v[2:3]
	;; [unrolled: 1-line block ×4, first 2 shown]
	v_fma_f64 v[62:63], v[70:71], s[16:17], -v[62:63]
	v_fma_f64 v[68:69], v[78:79], s[16:17], -v[68:69]
	;; [unrolled: 1-line block ×4, first 2 shown]
	v_fma_f64 v[70:71], v[58:59], s[20:21], v[90:91]
	v_fma_f64 v[78:79], v[60:61], s[20:21], v[97:98]
	v_fma_f64 v[46:47], v[46:47], s[6:7], -v[90:91]
	v_fma_f64 v[48:49], v[48:49], s[6:7], -v[97:98]
	;; [unrolled: 1-line block ×4, first 2 shown]
	v_add_f64 v[90:91], v[20:21], v[50:51]
	v_add_f64 v[97:98], v[22:23], v[56:57]
	;; [unrolled: 1-line block ×6, first 2 shown]
	v_fma_f64 v[58:59], v[16:17], s[22:23], v[58:59]
	v_fma_f64 v[60:61], v[18:19], s[22:23], v[60:61]
	;; [unrolled: 1-line block ×6, first 2 shown]
	v_fma_f64 v[70:71], v[24:25], v[88:89], -v[4:5]
	v_fma_f64 v[78:79], v[26:27], v[88:89], v[6:7]
	v_add_f64 v[14:15], v[56:57], -v[58:59]
	v_add_f64 v[12:13], v[60:61], v[50:51]
	v_add_f64 v[16:17], v[20:21], -v[48:49]
	v_add_f64 v[18:19], v[46:47], v[22:23]
	v_add_f64 v[20:21], v[48:49], v[20:21]
	v_add_f64 v[22:23], v[22:23], -v[46:47]
	v_add_f64 v[24:25], v[50:51], -v[60:61]
	v_add_f64 v[26:27], v[58:59], v[56:57]
	v_add_f64 v[46:47], v[119:120], v[42:43]
	;; [unrolled: 1-line block ×5, first 2 shown]
	v_add_f64 v[42:43], v[119:120], -v[42:43]
	v_add_f64 v[44:45], v[123:124], -v[44:45]
	;; [unrolled: 1-line block ×4, first 2 shown]
	v_add_f64 v[40:41], v[30:31], v[34:35]
	v_add_f64 v[58:59], v[32:33], v[36:37]
	v_add_f64 v[30:31], v[34:35], -v[30:31]
	v_add_f64 v[32:33], v[36:37], -v[32:33]
	v_add_f64 v[34:35], v[50:51], v[46:47]
	v_add_f64 v[36:37], v[56:57], v[48:49]
	v_add_f64 v[60:61], v[50:51], -v[46:47]
	v_add_f64 v[64:65], v[56:57], -v[48:49]
	;; [unrolled: 1-line block ×6, first 2 shown]
	v_add_f64 v[88:89], v[30:31], v[38:39]
	v_add_f64 v[101:102], v[32:33], v[28:29]
	v_add_f64 v[103:104], v[30:31], -v[38:39]
	v_add_f64 v[107:108], v[32:33], -v[28:29]
	v_add_f64 v[34:35], v[40:41], v[34:35]
	v_add_f64 v[36:37], v[58:59], v[36:37]
	v_add_f64 v[38:39], v[38:39], -v[42:43]
	v_add_f64 v[28:29], v[28:29], -v[44:45]
	v_add_f64 v[30:31], v[42:43], -v[30:31]
	v_add_f64 v[32:33], v[44:45], -v[32:33]
	v_add_f64 v[40:41], v[88:89], v[42:43]
	v_add_f64 v[42:43], v[101:102], v[44:45]
	;; [unrolled: 1-line block ×4, first 2 shown]
	v_mul_f64 v[44:45], v[46:47], s[4:5]
	v_mul_f64 v[46:47], v[48:49], s[4:5]
	;; [unrolled: 1-line block ×8, first 2 shown]
	v_fma_f64 v[34:35], v[34:35], s[14:15], v[8:9]
	v_fma_f64 v[36:37], v[36:37], s[14:15], v[10:11]
	;; [unrolled: 1-line block ×4, first 2 shown]
	v_fma_f64 v[48:49], v[60:61], s[16:17], -v[48:49]
	v_fma_f64 v[58:59], v[64:65], s[16:17], -v[58:59]
	;; [unrolled: 1-line block ×4, first 2 shown]
	v_fma_f64 v[60:61], v[30:31], s[20:21], v[88:89]
	v_fma_f64 v[64:65], v[32:33], s[20:21], v[101:102]
	v_fma_f64 v[38:39], v[38:39], s[6:7], -v[88:89]
	v_fma_f64 v[28:29], v[28:29], s[6:7], -v[101:102]
	;; [unrolled: 1-line block ×4, first 2 shown]
	v_add_f64 v[88:89], v[50:51], v[34:35]
	v_add_f64 v[101:102], v[56:57], v[36:37]
	;; [unrolled: 1-line block ×6, first 2 shown]
	v_fma_f64 v[107:108], v[40:41], s[22:23], v[30:31]
	v_fma_f64 v[103:104], v[42:43], s[22:23], v[32:33]
	;; [unrolled: 1-line block ×4, first 2 shown]
	v_add_f64 v[4:5], v[62:63], v[90:91]
	v_add_f64 v[6:7], v[97:98], -v[68:69]
	v_fma_f64 v[64:65], v[42:43], s[22:23], v[64:65]
	v_fma_f64 v[60:61], v[40:41], s[22:23], v[60:61]
	v_add_f64 v[28:29], v[90:91], -v[62:63]
	v_add_f64 v[30:31], v[68:69], v[97:98]
	v_add_f64 v[36:37], v[103:104], v[56:57]
	v_add_f64 v[38:39], v[58:59], -v[107:108]
	v_add_f64 v[40:41], v[48:49], -v[44:45]
	v_add_f64 v[42:43], v[46:47], v[50:51]
	v_add_f64 v[44:45], v[44:45], v[48:49]
	v_add_f64 v[46:47], v[50:51], -v[46:47]
	v_add_f64 v[48:49], v[56:57], -v[103:104]
	v_add_f64 v[50:51], v[107:108], v[58:59]
	v_add_f64 v[56:57], v[66:67], v[70:71]
	;; [unrolled: 1-line block ×3, first 2 shown]
	v_add_f64 v[62:63], v[66:67], -v[70:71]
	v_add_f64 v[68:69], v[82:83], v[74:75]
	v_add_f64 v[70:71], v[52:53], v[76:77]
	v_add_f64 v[66:67], v[72:73], -v[78:79]
	v_add_f64 v[72:73], v[82:83], -v[74:75]
	;; [unrolled: 1-line block ×3, first 2 shown]
	v_add_f64 v[74:75], v[99:100], v[105:106]
	v_add_f64 v[76:77], v[80:81], v[54:55]
	v_add_f64 v[78:79], v[105:106], -v[99:100]
	v_add_f64 v[54:55], v[54:55], -v[80:81]
	v_add_f64 v[80:81], v[68:69], v[56:57]
	v_add_f64 v[82:83], v[70:71], v[58:59]
	v_add_f64 v[90:91], v[68:69], -v[56:57]
	v_add_f64 v[97:98], v[70:71], -v[58:59]
	;; [unrolled: 1-line block ×6, first 2 shown]
	v_add_f64 v[99:100], v[78:79], v[72:73]
	v_add_f64 v[103:104], v[54:55], v[52:53]
	v_add_f64 v[105:106], v[78:79], -v[72:73]
	v_add_f64 v[107:108], v[54:55], -v[52:53]
	v_add_f64 v[74:75], v[74:75], v[80:81]
	v_add_f64 v[76:77], v[76:77], v[82:83]
	v_add_f64 v[72:73], v[72:73], -v[62:63]
	v_add_f64 v[82:83], v[52:53], -v[66:67]
	;; [unrolled: 1-line block ×4, first 2 shown]
	v_add_f64 v[62:63], v[99:100], v[62:63]
	v_add_f64 v[66:67], v[103:104], v[66:67]
	;; [unrolled: 1-line block ×4, first 2 shown]
	v_mul_f64 v[56:57], v[56:57], s[4:5]
	v_mul_f64 v[58:59], v[58:59], s[4:5]
	;; [unrolled: 1-line block ×8, first 2 shown]
	v_fma_f64 v[74:75], v[74:75], s[14:15], v[52:53]
	v_fma_f64 v[76:77], v[76:77], s[14:15], v[54:55]
	;; [unrolled: 1-line block ×4, first 2 shown]
	v_fma_f64 v[84:85], v[90:91], s[16:17], -v[84:85]
	v_fma_f64 v[86:87], v[97:98], s[16:17], -v[86:87]
	;; [unrolled: 1-line block ×4, first 2 shown]
	v_fma_f64 v[90:91], v[78:79], s[20:21], v[99:100]
	v_fma_f64 v[97:98], v[80:81], s[20:21], v[103:104]
	v_fma_f64 v[72:73], v[72:73], s[6:7], -v[99:100]
	v_fma_f64 v[82:83], v[82:83], s[6:7], -v[103:104]
	;; [unrolled: 1-line block ×4, first 2 shown]
	v_add_f64 v[99:100], v[68:69], v[74:75]
	v_add_f64 v[103:104], v[70:71], v[76:77]
	;; [unrolled: 1-line block ×6, first 2 shown]
	v_fma_f64 v[97:98], v[66:67], s[22:23], v[97:98]
	v_fma_f64 v[90:91], v[62:63], s[22:23], v[90:91]
	;; [unrolled: 1-line block ×6, first 2 shown]
	v_add_f64 v[32:33], v[64:65], v[88:89]
	v_add_f64 v[34:35], v[101:102], -v[60:61]
	v_add_f64 v[56:57], v[88:89], -v[64:65]
	v_add_f64 v[58:59], v[60:61], v[101:102]
	v_add_f64 v[60:61], v[97:98], v[99:100]
	v_add_f64 v[62:63], v[103:104], -v[90:91]
	v_add_f64 v[64:65], v[76:77], v[105:106]
	v_add_f64 v[66:67], v[107:108], -v[78:79]
	v_add_f64 v[68:69], v[84:85], -v[74:75]
	v_add_f64 v[70:71], v[80:81], v[86:87]
	v_add_f64 v[72:73], v[74:75], v[84:85]
	v_add_f64 v[74:75], v[86:87], -v[80:81]
	v_add_f64 v[76:77], v[105:106], -v[76:77]
	v_add_f64 v[78:79], v[78:79], v[107:108]
	v_add_f64 v[80:81], v[99:100], -v[97:98]
	v_add_f64 v[82:83], v[90:91], v[103:104]
	s_waitcnt lgkmcnt(0)
	; wave barrier
	ds_write_b128 v96, v[0:3]
	ds_write_b128 v96, v[4:7] offset:2688
	ds_write_b128 v96, v[12:15] offset:5376
	;; [unrolled: 1-line block ×20, first 2 shown]
	s_waitcnt lgkmcnt(0)
	; wave barrier
	s_waitcnt lgkmcnt(0)
	s_and_saveexec_b64 s[2:3], s[0:1]
	s_cbranch_execz .LBB0_31
; %bb.30:
	v_lshl_add_u32 v10, v92, 4, 0
	v_mov_b32_e32 v93, 0
	ds_read_b128 v[0:3], v10
	v_mov_b32_e32 v4, s13
	v_add_co_u32_e32 v11, vcc, s12, v94
	v_addc_co_u32_e32 v12, vcc, v4, v95, vcc
	v_lshlrev_b64 v[4:5], 4, v[92:93]
	v_add_co_u32_e32 v8, vcc, v11, v4
	v_addc_co_u32_e32 v9, vcc, v12, v5, vcc
	ds_read_b128 v[4:7], v10 offset:896
	s_waitcnt lgkmcnt(1)
	global_store_dwordx4 v[8:9], v[0:3], off
	s_nop 0
	v_add_u32_e32 v0, 56, v92
	v_mov_b32_e32 v1, v93
	v_lshlrev_b64 v[0:1], 4, v[0:1]
	v_add_co_u32_e32 v0, vcc, v11, v0
	v_addc_co_u32_e32 v1, vcc, v12, v1, vcc
	s_waitcnt lgkmcnt(0)
	global_store_dwordx4 v[0:1], v[4:7], off
	ds_read_b128 v[0:3], v10 offset:1792
	v_add_u32_e32 v4, 0x70, v92
	v_mov_b32_e32 v5, v93
	v_lshlrev_b64 v[4:5], 4, v[4:5]
	v_add_co_u32_e32 v8, vcc, v11, v4
	v_addc_co_u32_e32 v9, vcc, v12, v5, vcc
	ds_read_b128 v[4:7], v10 offset:2688
	s_waitcnt lgkmcnt(1)
	global_store_dwordx4 v[8:9], v[0:3], off
	s_nop 0
	v_add_u32_e32 v0, 0xa8, v92
	v_mov_b32_e32 v1, v93
	v_lshlrev_b64 v[0:1], 4, v[0:1]
	v_add_co_u32_e32 v0, vcc, v11, v0
	v_addc_co_u32_e32 v1, vcc, v12, v1, vcc
	s_waitcnt lgkmcnt(0)
	global_store_dwordx4 v[0:1], v[4:7], off
	ds_read_b128 v[0:3], v10 offset:3584
	v_add_u32_e32 v4, 0xe0, v92
	v_mov_b32_e32 v5, v93
	;; [unrolled: 17-line block ×9, first 2 shown]
	v_lshlrev_b64 v[4:5], 4, v[4:5]
	v_add_co_u32_e32 v8, vcc, v11, v4
	v_addc_co_u32_e32 v9, vcc, v12, v5, vcc
	ds_read_b128 v[4:7], v10 offset:17024
	s_waitcnt lgkmcnt(1)
	global_store_dwordx4 v[8:9], v[0:3], off
	s_nop 0
	v_add_u32_e32 v0, 0x428, v92
	v_mov_b32_e32 v1, v93
	v_lshlrev_b64 v[0:1], 4, v[0:1]
	v_add_u32_e32 v92, 0x460, v92
	v_add_co_u32_e32 v0, vcc, v11, v0
	v_addc_co_u32_e32 v1, vcc, v12, v1, vcc
	s_waitcnt lgkmcnt(0)
	global_store_dwordx4 v[0:1], v[4:7], off
	ds_read_b128 v[0:3], v10 offset:17920
	v_lshlrev_b64 v[4:5], 4, v[92:93]
	v_add_co_u32_e32 v4, vcc, v11, v4
	v_addc_co_u32_e32 v5, vcc, v12, v5, vcc
	s_waitcnt lgkmcnt(0)
	global_store_dwordx4 v[4:5], v[0:3], off
.LBB0_31:
	s_endpgm
	.section	.rodata,"a",@progbits
	.p2align	6, 0x0
	.amdhsa_kernel fft_rtc_fwd_len1176_factors_2_2_2_3_7_7_wgs_56_tpt_56_halfLds_dp_ip_CI_unitstride_sbrr_C2R_dirReg
		.amdhsa_group_segment_fixed_size 0
		.amdhsa_private_segment_fixed_size 0
		.amdhsa_kernarg_size 88
		.amdhsa_user_sgpr_count 6
		.amdhsa_user_sgpr_private_segment_buffer 1
		.amdhsa_user_sgpr_dispatch_ptr 0
		.amdhsa_user_sgpr_queue_ptr 0
		.amdhsa_user_sgpr_kernarg_segment_ptr 1
		.amdhsa_user_sgpr_dispatch_id 0
		.amdhsa_user_sgpr_flat_scratch_init 0
		.amdhsa_user_sgpr_private_segment_size 0
		.amdhsa_uses_dynamic_stack 0
		.amdhsa_system_sgpr_private_segment_wavefront_offset 0
		.amdhsa_system_sgpr_workgroup_id_x 1
		.amdhsa_system_sgpr_workgroup_id_y 0
		.amdhsa_system_sgpr_workgroup_id_z 0
		.amdhsa_system_sgpr_workgroup_info 0
		.amdhsa_system_vgpr_workitem_id 0
		.amdhsa_next_free_vgpr 144
		.amdhsa_next_free_sgpr 26
		.amdhsa_reserve_vcc 1
		.amdhsa_reserve_flat_scratch 0
		.amdhsa_float_round_mode_32 0
		.amdhsa_float_round_mode_16_64 0
		.amdhsa_float_denorm_mode_32 3
		.amdhsa_float_denorm_mode_16_64 3
		.amdhsa_dx10_clamp 1
		.amdhsa_ieee_mode 1
		.amdhsa_fp16_overflow 0
		.amdhsa_exception_fp_ieee_invalid_op 0
		.amdhsa_exception_fp_denorm_src 0
		.amdhsa_exception_fp_ieee_div_zero 0
		.amdhsa_exception_fp_ieee_overflow 0
		.amdhsa_exception_fp_ieee_underflow 0
		.amdhsa_exception_fp_ieee_inexact 0
		.amdhsa_exception_int_div_zero 0
	.end_amdhsa_kernel
	.text
.Lfunc_end0:
	.size	fft_rtc_fwd_len1176_factors_2_2_2_3_7_7_wgs_56_tpt_56_halfLds_dp_ip_CI_unitstride_sbrr_C2R_dirReg, .Lfunc_end0-fft_rtc_fwd_len1176_factors_2_2_2_3_7_7_wgs_56_tpt_56_halfLds_dp_ip_CI_unitstride_sbrr_C2R_dirReg
                                        ; -- End function
	.section	.AMDGPU.csdata,"",@progbits
; Kernel info:
; codeLenInByte = 16520
; NumSgprs: 30
; NumVgprs: 144
; ScratchSize: 0
; MemoryBound: 0
; FloatMode: 240
; IeeeMode: 1
; LDSByteSize: 0 bytes/workgroup (compile time only)
; SGPRBlocks: 3
; VGPRBlocks: 35
; NumSGPRsForWavesPerEU: 30
; NumVGPRsForWavesPerEU: 144
; Occupancy: 1
; WaveLimiterHint : 1
; COMPUTE_PGM_RSRC2:SCRATCH_EN: 0
; COMPUTE_PGM_RSRC2:USER_SGPR: 6
; COMPUTE_PGM_RSRC2:TRAP_HANDLER: 0
; COMPUTE_PGM_RSRC2:TGID_X_EN: 1
; COMPUTE_PGM_RSRC2:TGID_Y_EN: 0
; COMPUTE_PGM_RSRC2:TGID_Z_EN: 0
; COMPUTE_PGM_RSRC2:TIDIG_COMP_CNT: 0
	.type	__hip_cuid_d56bf244258920f7,@object ; @__hip_cuid_d56bf244258920f7
	.section	.bss,"aw",@nobits
	.globl	__hip_cuid_d56bf244258920f7
__hip_cuid_d56bf244258920f7:
	.byte	0                               ; 0x0
	.size	__hip_cuid_d56bf244258920f7, 1

	.ident	"AMD clang version 19.0.0git (https://github.com/RadeonOpenCompute/llvm-project roc-6.4.0 25133 c7fe45cf4b819c5991fe208aaa96edf142730f1d)"
	.section	".note.GNU-stack","",@progbits
	.addrsig
	.addrsig_sym __hip_cuid_d56bf244258920f7
	.amdgpu_metadata
---
amdhsa.kernels:
  - .args:
      - .actual_access:  read_only
        .address_space:  global
        .offset:         0
        .size:           8
        .value_kind:     global_buffer
      - .offset:         8
        .size:           8
        .value_kind:     by_value
      - .actual_access:  read_only
        .address_space:  global
        .offset:         16
        .size:           8
        .value_kind:     global_buffer
      - .actual_access:  read_only
        .address_space:  global
        .offset:         24
        .size:           8
        .value_kind:     global_buffer
      - .offset:         32
        .size:           8
        .value_kind:     by_value
      - .actual_access:  read_only
        .address_space:  global
        .offset:         40
        .size:           8
        .value_kind:     global_buffer
      - .actual_access:  read_only
        .address_space:  global
        .offset:         48
        .size:           8
        .value_kind:     global_buffer
      - .offset:         56
        .size:           4
        .value_kind:     by_value
      - .actual_access:  read_only
        .address_space:  global
        .offset:         64
        .size:           8
        .value_kind:     global_buffer
      - .actual_access:  read_only
        .address_space:  global
        .offset:         72
        .size:           8
        .value_kind:     global_buffer
      - .address_space:  global
        .offset:         80
        .size:           8
        .value_kind:     global_buffer
    .group_segment_fixed_size: 0
    .kernarg_segment_align: 8
    .kernarg_segment_size: 88
    .language:       OpenCL C
    .language_version:
      - 2
      - 0
    .max_flat_workgroup_size: 56
    .name:           fft_rtc_fwd_len1176_factors_2_2_2_3_7_7_wgs_56_tpt_56_halfLds_dp_ip_CI_unitstride_sbrr_C2R_dirReg
    .private_segment_fixed_size: 0
    .sgpr_count:     30
    .sgpr_spill_count: 0
    .symbol:         fft_rtc_fwd_len1176_factors_2_2_2_3_7_7_wgs_56_tpt_56_halfLds_dp_ip_CI_unitstride_sbrr_C2R_dirReg.kd
    .uniform_work_group_size: 1
    .uses_dynamic_stack: false
    .vgpr_count:     144
    .vgpr_spill_count: 0
    .wavefront_size: 64
amdhsa.target:   amdgcn-amd-amdhsa--gfx906
amdhsa.version:
  - 1
  - 2
...

	.end_amdgpu_metadata
